;; amdgpu-corpus repo=ROCm/rocFFT kind=compiled arch=gfx906 opt=O3
	.text
	.amdgcn_target "amdgcn-amd-amdhsa--gfx906"
	.amdhsa_code_object_version 6
	.protected	fft_rtc_fwd_len2916_factors_6_6_3_3_3_3_wgs_243_tpt_243_halfLds_half_op_CI_CI_unitstride_sbrr_C2R_dirReg ; -- Begin function fft_rtc_fwd_len2916_factors_6_6_3_3_3_3_wgs_243_tpt_243_halfLds_half_op_CI_CI_unitstride_sbrr_C2R_dirReg
	.globl	fft_rtc_fwd_len2916_factors_6_6_3_3_3_3_wgs_243_tpt_243_halfLds_half_op_CI_CI_unitstride_sbrr_C2R_dirReg
	.p2align	8
	.type	fft_rtc_fwd_len2916_factors_6_6_3_3_3_3_wgs_243_tpt_243_halfLds_half_op_CI_CI_unitstride_sbrr_C2R_dirReg,@function
fft_rtc_fwd_len2916_factors_6_6_3_3_3_3_wgs_243_tpt_243_halfLds_half_op_CI_CI_unitstride_sbrr_C2R_dirReg: ; @fft_rtc_fwd_len2916_factors_6_6_3_3_3_3_wgs_243_tpt_243_halfLds_half_op_CI_CI_unitstride_sbrr_C2R_dirReg
; %bb.0:
	s_load_dwordx4 s[8:11], s[4:5], 0x58
	s_load_dwordx4 s[12:15], s[4:5], 0x0
	;; [unrolled: 1-line block ×3, first 2 shown]
	v_mul_u32_u24_e32 v1, 0x10e, v0
	v_mov_b32_e32 v8, 0
	v_mov_b32_e32 v6, 0
	s_waitcnt lgkmcnt(0)
	v_cmp_lt_u64_e64 s[0:1], s[14:15], 2
	v_add_u32_sdwa v10, s6, v1 dst_sel:DWORD dst_unused:UNUSED_PAD src0_sel:DWORD src1_sel:WORD_1
	v_mov_b32_e32 v11, v8
	s_and_b64 vcc, exec, s[0:1]
	v_mov_b32_e32 v7, 0
	s_cbranch_vccnz .LBB0_8
; %bb.1:
	s_load_dwordx2 s[0:1], s[4:5], 0x10
	s_add_u32 s2, s18, 8
	s_addc_u32 s3, s19, 0
	s_add_u32 s6, s16, 8
	s_addc_u32 s7, s17, 0
	v_mov_b32_e32 v6, 0
	s_waitcnt lgkmcnt(0)
	s_add_u32 s20, s0, 8
	v_mov_b32_e32 v7, 0
	v_mov_b32_e32 v1, v6
	s_addc_u32 s21, s1, 0
	s_mov_b64 s[22:23], 1
	v_mov_b32_e32 v2, v7
.LBB0_2:                                ; =>This Inner Loop Header: Depth=1
	s_load_dwordx2 s[24:25], s[20:21], 0x0
                                        ; implicit-def: $vgpr3_vgpr4
	s_waitcnt lgkmcnt(0)
	v_or_b32_e32 v9, s25, v11
	v_cmp_ne_u64_e32 vcc, 0, v[8:9]
	s_and_saveexec_b64 s[0:1], vcc
	s_xor_b64 s[26:27], exec, s[0:1]
	s_cbranch_execz .LBB0_4
; %bb.3:                                ;   in Loop: Header=BB0_2 Depth=1
	v_cvt_f32_u32_e32 v3, s24
	v_cvt_f32_u32_e32 v4, s25
	s_sub_u32 s0, 0, s24
	s_subb_u32 s1, 0, s25
	v_mac_f32_e32 v3, 0x4f800000, v4
	v_rcp_f32_e32 v3, v3
	v_mul_f32_e32 v3, 0x5f7ffffc, v3
	v_mul_f32_e32 v4, 0x2f800000, v3
	v_trunc_f32_e32 v4, v4
	v_mac_f32_e32 v3, 0xcf800000, v4
	v_cvt_u32_f32_e32 v4, v4
	v_cvt_u32_f32_e32 v3, v3
	v_mul_lo_u32 v5, s0, v4
	v_mul_hi_u32 v9, s0, v3
	v_mul_lo_u32 v13, s1, v3
	v_mul_lo_u32 v12, s0, v3
	v_add_u32_e32 v5, v9, v5
	v_add_u32_e32 v5, v5, v13
	v_mul_hi_u32 v9, v3, v12
	v_mul_lo_u32 v13, v3, v5
	v_mul_hi_u32 v15, v3, v5
	v_mul_hi_u32 v14, v4, v12
	v_mul_lo_u32 v12, v4, v12
	v_mul_hi_u32 v16, v4, v5
	v_add_co_u32_e32 v9, vcc, v9, v13
	v_addc_co_u32_e32 v13, vcc, 0, v15, vcc
	v_mul_lo_u32 v5, v4, v5
	v_add_co_u32_e32 v9, vcc, v9, v12
	v_addc_co_u32_e32 v9, vcc, v13, v14, vcc
	v_addc_co_u32_e32 v12, vcc, 0, v16, vcc
	v_add_co_u32_e32 v5, vcc, v9, v5
	v_addc_co_u32_e32 v9, vcc, 0, v12, vcc
	v_add_co_u32_e32 v3, vcc, v3, v5
	v_addc_co_u32_e32 v4, vcc, v4, v9, vcc
	v_mul_lo_u32 v5, s0, v4
	v_mul_hi_u32 v9, s0, v3
	v_mul_lo_u32 v12, s1, v3
	v_mul_lo_u32 v13, s0, v3
	v_add_u32_e32 v5, v9, v5
	v_add_u32_e32 v5, v5, v12
	v_mul_lo_u32 v14, v3, v5
	v_mul_hi_u32 v15, v3, v13
	v_mul_hi_u32 v16, v3, v5
	v_mul_hi_u32 v12, v4, v13
	v_mul_lo_u32 v13, v4, v13
	v_mul_hi_u32 v9, v4, v5
	v_add_co_u32_e32 v14, vcc, v15, v14
	v_addc_co_u32_e32 v15, vcc, 0, v16, vcc
	v_mul_lo_u32 v5, v4, v5
	v_add_co_u32_e32 v13, vcc, v14, v13
	v_addc_co_u32_e32 v12, vcc, v15, v12, vcc
	v_addc_co_u32_e32 v9, vcc, 0, v9, vcc
	v_add_co_u32_e32 v5, vcc, v12, v5
	v_addc_co_u32_e32 v9, vcc, 0, v9, vcc
	v_add_co_u32_e32 v5, vcc, v3, v5
	v_addc_co_u32_e32 v9, vcc, v4, v9, vcc
	v_mad_u64_u32 v[3:4], s[0:1], v10, v9, 0
	v_mul_hi_u32 v12, v10, v5
	v_add_co_u32_e32 v14, vcc, v12, v3
	v_addc_co_u32_e32 v15, vcc, 0, v4, vcc
	v_mad_u64_u32 v[3:4], s[0:1], v11, v5, 0
	v_mad_u64_u32 v[12:13], s[0:1], v11, v9, 0
	v_add_co_u32_e32 v3, vcc, v14, v3
	v_addc_co_u32_e32 v3, vcc, v15, v4, vcc
	v_addc_co_u32_e32 v4, vcc, 0, v13, vcc
	v_add_co_u32_e32 v5, vcc, v3, v12
	v_addc_co_u32_e32 v9, vcc, 0, v4, vcc
	v_mul_lo_u32 v12, s25, v5
	v_mul_lo_u32 v13, s24, v9
	v_mad_u64_u32 v[3:4], s[0:1], s24, v5, 0
	v_add3_u32 v4, v4, v13, v12
	v_sub_u32_e32 v12, v11, v4
	v_mov_b32_e32 v13, s25
	v_sub_co_u32_e32 v3, vcc, v10, v3
	v_subb_co_u32_e64 v12, s[0:1], v12, v13, vcc
	v_subrev_co_u32_e64 v13, s[0:1], s24, v3
	v_subbrev_co_u32_e64 v12, s[0:1], 0, v12, s[0:1]
	v_cmp_le_u32_e64 s[0:1], s25, v12
	v_cndmask_b32_e64 v14, 0, -1, s[0:1]
	v_cmp_le_u32_e64 s[0:1], s24, v13
	v_cndmask_b32_e64 v13, 0, -1, s[0:1]
	v_cmp_eq_u32_e64 s[0:1], s25, v12
	v_cndmask_b32_e64 v12, v14, v13, s[0:1]
	v_add_co_u32_e64 v13, s[0:1], 2, v5
	v_addc_co_u32_e64 v14, s[0:1], 0, v9, s[0:1]
	v_add_co_u32_e64 v15, s[0:1], 1, v5
	v_addc_co_u32_e64 v16, s[0:1], 0, v9, s[0:1]
	v_subb_co_u32_e32 v4, vcc, v11, v4, vcc
	v_cmp_ne_u32_e64 s[0:1], 0, v12
	v_cmp_le_u32_e32 vcc, s25, v4
	v_cndmask_b32_e64 v12, v16, v14, s[0:1]
	v_cndmask_b32_e64 v14, 0, -1, vcc
	v_cmp_le_u32_e32 vcc, s24, v3
	v_cndmask_b32_e64 v3, 0, -1, vcc
	v_cmp_eq_u32_e32 vcc, s25, v4
	v_cndmask_b32_e32 v3, v14, v3, vcc
	v_cmp_ne_u32_e32 vcc, 0, v3
	v_cndmask_b32_e64 v3, v15, v13, s[0:1]
	v_cndmask_b32_e32 v4, v9, v12, vcc
	v_cndmask_b32_e32 v3, v5, v3, vcc
.LBB0_4:                                ;   in Loop: Header=BB0_2 Depth=1
	s_andn2_saveexec_b64 s[0:1], s[26:27]
	s_cbranch_execz .LBB0_6
; %bb.5:                                ;   in Loop: Header=BB0_2 Depth=1
	v_cvt_f32_u32_e32 v3, s24
	s_sub_i32 s26, 0, s24
	v_rcp_iflag_f32_e32 v3, v3
	v_mul_f32_e32 v3, 0x4f7ffffe, v3
	v_cvt_u32_f32_e32 v3, v3
	v_mul_lo_u32 v4, s26, v3
	v_mul_hi_u32 v4, v3, v4
	v_add_u32_e32 v3, v3, v4
	v_mul_hi_u32 v3, v10, v3
	v_mul_lo_u32 v4, v3, s24
	v_add_u32_e32 v5, 1, v3
	v_sub_u32_e32 v4, v10, v4
	v_subrev_u32_e32 v9, s24, v4
	v_cmp_le_u32_e32 vcc, s24, v4
	v_cndmask_b32_e32 v4, v4, v9, vcc
	v_cndmask_b32_e32 v3, v3, v5, vcc
	v_add_u32_e32 v5, 1, v3
	v_cmp_le_u32_e32 vcc, s24, v4
	v_cndmask_b32_e32 v3, v3, v5, vcc
	v_mov_b32_e32 v4, v8
.LBB0_6:                                ;   in Loop: Header=BB0_2 Depth=1
	s_or_b64 exec, exec, s[0:1]
	v_mul_lo_u32 v5, v4, s24
	v_mul_lo_u32 v9, v3, s25
	v_mad_u64_u32 v[12:13], s[0:1], v3, s24, 0
	s_load_dwordx2 s[0:1], s[6:7], 0x0
	s_load_dwordx2 s[24:25], s[2:3], 0x0
	v_add3_u32 v5, v13, v9, v5
	v_sub_co_u32_e32 v9, vcc, v10, v12
	v_subb_co_u32_e32 v5, vcc, v11, v5, vcc
	s_waitcnt lgkmcnt(0)
	v_mul_lo_u32 v10, s0, v5
	v_mul_lo_u32 v11, s1, v9
	v_mad_u64_u32 v[6:7], s[0:1], s0, v9, v[6:7]
	s_add_u32 s22, s22, 1
	s_addc_u32 s23, s23, 0
	s_add_u32 s2, s2, 8
	v_mul_lo_u32 v5, s24, v5
	v_mul_lo_u32 v12, s25, v9
	v_mad_u64_u32 v[1:2], s[0:1], s24, v9, v[1:2]
	v_add3_u32 v7, v11, v7, v10
	s_addc_u32 s3, s3, 0
	v_mov_b32_e32 v9, s14
	s_add_u32 s6, s6, 8
	v_mov_b32_e32 v10, s15
	s_addc_u32 s7, s7, 0
	v_cmp_ge_u64_e32 vcc, s[22:23], v[9:10]
	s_add_u32 s20, s20, 8
	v_add3_u32 v2, v12, v2, v5
	s_addc_u32 s21, s21, 0
	s_cbranch_vccnz .LBB0_9
; %bb.7:                                ;   in Loop: Header=BB0_2 Depth=1
	v_mov_b32_e32 v11, v4
	v_mov_b32_e32 v10, v3
	s_branch .LBB0_2
.LBB0_8:
	v_mov_b32_e32 v1, v6
	v_mov_b32_e32 v3, v10
	;; [unrolled: 1-line block ×4, first 2 shown]
.LBB0_9:
	s_load_dwordx2 s[4:5], s[4:5], 0x28
	s_lshl_b64 s[6:7], s[14:15], 3
	s_add_u32 s2, s18, s6
	s_addc_u32 s3, s19, s7
                                        ; implicit-def: $vgpr5
	s_waitcnt lgkmcnt(0)
	v_cmp_gt_u64_e64 s[0:1], s[4:5], v[3:4]
	v_cmp_le_u64_e32 vcc, s[4:5], v[3:4]
	s_and_saveexec_b64 s[4:5], vcc
	s_xor_b64 s[4:5], exec, s[4:5]
; %bb.10:
	s_mov_b32 s14, 0x10db20b
	v_mul_hi_u32 v5, v0, s14
                                        ; implicit-def: $vgpr6_vgpr7
	v_mul_u32_u24_e32 v5, 0xf3, v5
	v_sub_u32_e32 v5, v0, v5
                                        ; implicit-def: $vgpr0
; %bb.11:
	s_or_saveexec_b64 s[4:5], s[4:5]
	s_load_dwordx2 s[2:3], s[2:3], 0x0
	s_xor_b64 exec, exec, s[4:5]
	s_cbranch_execz .LBB0_15
; %bb.12:
	s_add_u32 s6, s16, s6
	s_addc_u32 s7, s17, s7
	s_load_dwordx2 s[6:7], s[6:7], 0x0
	s_mov_b32 s14, 0x10db20b
	v_mul_hi_u32 v5, v0, s14
	v_lshlrev_b64 v[6:7], 2, v[6:7]
	s_waitcnt lgkmcnt(0)
	v_mul_lo_u32 v10, s7, v3
	v_mul_lo_u32 v11, s6, v4
	v_mad_u64_u32 v[8:9], s[6:7], s6, v3, 0
	v_mul_u32_u24_e32 v5, 0xf3, v5
	v_sub_u32_e32 v5, v0, v5
	v_add3_u32 v9, v9, v11, v10
	v_lshlrev_b64 v[8:9], 2, v[8:9]
	v_mov_b32_e32 v0, s9
	v_add_co_u32_e32 v8, vcc, s8, v8
	v_addc_co_u32_e32 v0, vcc, v0, v9, vcc
	v_add_co_u32_e32 v6, vcc, v8, v6
	v_addc_co_u32_e32 v0, vcc, v0, v7, vcc
	v_lshlrev_b32_e32 v13, 2, v5
	v_add_co_u32_e32 v7, vcc, v6, v13
	v_addc_co_u32_e32 v8, vcc, 0, v0, vcc
	s_movk_i32 s6, 0x1000
	v_add_co_u32_e32 v9, vcc, s6, v7
	v_addc_co_u32_e32 v10, vcc, 0, v8, vcc
	v_add_co_u32_e32 v11, vcc, 0x2000, v7
	v_addc_co_u32_e32 v12, vcc, 0, v8, vcc
	global_load_dword v14, v[7:8], off
	global_load_dword v15, v[7:8], off offset:972
	global_load_dword v16, v[7:8], off offset:1944
	global_load_dword v17, v[7:8], off offset:2916
	global_load_dword v18, v[7:8], off offset:3888
	global_load_dword v19, v[9:10], off offset:764
	global_load_dword v20, v[9:10], off offset:1736
	global_load_dword v21, v[9:10], off offset:2708
	global_load_dword v22, v[9:10], off offset:3680
	global_load_dword v23, v[11:12], off offset:556
	global_load_dword v24, v[11:12], off offset:1528
	global_load_dword v25, v[11:12], off offset:2500
	s_movk_i32 s6, 0xf2
	v_add_u32_e32 v7, 0, v13
	v_add_u32_e32 v8, 0x780, v7
	v_cmp_eq_u32_e32 vcc, s6, v5
	v_add_u32_e32 v9, 0xf00, v7
	v_add_u32_e32 v10, 0x16c0, v7
	;; [unrolled: 1-line block ×4, first 2 shown]
	s_waitcnt vmcnt(8)
	ds_write2_b32 v8, v16, v17 offset0:6 offset1:249
	ds_write2_b32 v7, v14, v15 offset1:243
	s_waitcnt vmcnt(6)
	ds_write2_b32 v9, v18, v19 offset0:12 offset1:255
	s_waitcnt vmcnt(4)
	ds_write2_b32 v10, v20, v21 offset0:2 offset1:245
	;; [unrolled: 2-line block ×4, first 2 shown]
	s_and_saveexec_b64 s[6:7], vcc
	s_cbranch_execz .LBB0_14
; %bb.13:
	v_add_co_u32_e32 v5, vcc, 0x2000, v6
	v_addc_co_u32_e32 v6, vcc, 0, v0, vcc
	global_load_dword v0, v[5:6], off offset:3472
	v_mov_b32_e32 v5, 0
	s_waitcnt vmcnt(0)
	ds_write_b32 v5, v0 offset:11664
	v_mov_b32_e32 v5, 0xf2
.LBB0_14:
	s_or_b64 exec, exec, s[6:7]
.LBB0_15:
	s_or_b64 exec, exec, s[4:5]
	v_lshlrev_b32_e32 v6, 2, v5
	v_add_u32_e32 v0, 0, v6
	s_waitcnt lgkmcnt(0)
	s_barrier
	v_sub_u32_e32 v8, 0, v6
	ds_read_u16 v11, v0
	ds_read_u16 v12, v8 offset:11664
	s_add_u32 s6, s12, 0x2d78
	s_addc_u32 s7, s13, 0
	v_cmp_ne_u32_e32 vcc, 0, v5
                                        ; implicit-def: $vgpr6_vgpr7
	s_waitcnt lgkmcnt(0)
	v_add_f16_e32 v9, v12, v11
	v_sub_f16_e32 v10, v11, v12
	s_and_saveexec_b64 s[4:5], vcc
	s_xor_b64 s[4:5], exec, s[4:5]
	s_cbranch_execz .LBB0_17
; %bb.16:
	v_mov_b32_e32 v6, 0
	v_lshlrev_b64 v[9:10], 2, v[5:6]
	v_mov_b32_e32 v7, s7
	v_add_co_u32_e32 v9, vcc, s6, v9
	v_addc_co_u32_e32 v10, vcc, v7, v10, vcc
	global_load_dword v7, v[9:10], off
	ds_read_u16 v9, v8 offset:11666
	ds_read_u16 v10, v0 offset:2
	v_add_f16_e32 v13, v12, v11
	v_sub_f16_e32 v11, v11, v12
	s_waitcnt lgkmcnt(0)
	v_add_f16_e32 v12, v9, v10
	v_sub_f16_e32 v9, v10, v9
	s_waitcnt vmcnt(0)
	v_lshrrev_b32_e32 v10, 16, v7
	v_fma_f16 v14, v11, v10, v13
	v_fma_f16 v15, v12, v10, v9
	v_fma_f16 v13, -v11, v10, v13
	v_fma_f16 v16, v12, v10, -v9
	v_fma_f16 v9, -v7, v12, v14
	v_fma_f16 v10, v11, v7, v15
	v_fma_f16 v12, v7, v12, v13
	;; [unrolled: 1-line block ×3, first 2 shown]
	v_pack_b32_f16 v7, v12, v7
	ds_write_b32 v8, v7 offset:11664
	v_mov_b32_e32 v7, v6
	v_mov_b32_e32 v6, v5
.LBB0_17:
	s_andn2_saveexec_b64 s[4:5], s[4:5]
	s_cbranch_execz .LBB0_19
; %bb.18:
	v_mov_b32_e32 v11, 0
	ds_read_b32 v6, v11 offset:5832
	s_mov_b32 s8, 0xc0004000
	s_waitcnt lgkmcnt(0)
	v_pk_mul_f16 v12, v6, s8
	v_mov_b32_e32 v6, 0
	v_mov_b32_e32 v7, 0
	ds_write_b32 v11, v12 offset:5832
.LBB0_19:
	s_or_b64 exec, exec, s[4:5]
	v_lshlrev_b64 v[6:7], 2, v[6:7]
	v_mov_b32_e32 v11, s7
	v_add_co_u32_e32 v6, vcc, s6, v6
	v_addc_co_u32_e32 v7, vcc, v11, v7, vcc
	global_load_dword v11, v[6:7], off offset:972
	global_load_dword v12, v[6:7], off offset:1944
	;; [unrolled: 1-line block ×4, first 2 shown]
	s_mov_b32 s4, 0x5040100
	s_movk_i32 s5, 0x1000
	v_perm_b32 v9, v10, v9, s4
	v_add_co_u32_e32 v6, vcc, s5, v6
	ds_write_b32 v0, v9
	v_addc_co_u32_e32 v7, vcc, 0, v7, vcc
	ds_read_b32 v9, v0 offset:972
	ds_read_b32 v10, v8 offset:10692
	global_load_dword v6, v[6:7], off offset:764
	s_movk_i32 s4, 0x3aee
	s_mov_b32 s5, 0xffff
	s_mov_b32 s6, 0xbaee3aee
	s_waitcnt lgkmcnt(0)
	v_add_f16_e32 v7, v9, v10
	v_add_f16_sdwa v15, v10, v9 dst_sel:DWORD dst_unused:UNUSED_PAD src0_sel:WORD_1 src1_sel:WORD_1
	v_sub_f16_e32 v16, v9, v10
	v_sub_f16_sdwa v9, v9, v10 dst_sel:DWORD dst_unused:UNUSED_PAD src0_sel:WORD_1 src1_sel:WORD_1
	s_waitcnt vmcnt(4)
	v_lshrrev_b32_e32 v10, 16, v11
	v_fma_f16 v17, v16, v10, v7
	v_fma_f16 v18, v15, v10, v9
	v_fma_f16 v7, -v16, v10, v7
	v_fma_f16 v9, v15, v10, -v9
	v_fma_f16 v10, -v11, v15, v17
	v_fma_f16 v17, v16, v11, v18
	v_fma_f16 v7, v11, v15, v7
	v_fma_f16 v9, v16, v11, v9
	v_pack_b32_f16 v10, v10, v17
	v_pack_b32_f16 v7, v7, v9
	ds_write_b32 v0, v10 offset:972
	ds_write_b32 v8, v7 offset:10692
	ds_read_b32 v7, v0 offset:1944
	ds_read_b32 v9, v8 offset:9720
	s_waitcnt vmcnt(3)
	v_lshrrev_b32_e32 v10, 16, v12
	s_waitcnt lgkmcnt(0)
	v_add_f16_e32 v11, v7, v9
	v_add_f16_sdwa v15, v9, v7 dst_sel:DWORD dst_unused:UNUSED_PAD src0_sel:WORD_1 src1_sel:WORD_1
	v_sub_f16_e32 v16, v7, v9
	v_sub_f16_sdwa v7, v7, v9 dst_sel:DWORD dst_unused:UNUSED_PAD src0_sel:WORD_1 src1_sel:WORD_1
	v_fma_f16 v9, v16, v10, v11
	v_fma_f16 v17, v15, v10, v7
	v_fma_f16 v11, -v16, v10, v11
	v_fma_f16 v7, v15, v10, -v7
	v_fma_f16 v9, -v12, v15, v9
	v_fma_f16 v10, v16, v12, v17
	v_fma_f16 v11, v12, v15, v11
	v_fma_f16 v7, v16, v12, v7
	v_pack_b32_f16 v9, v9, v10
	v_pack_b32_f16 v7, v11, v7
	ds_write_b32 v0, v9 offset:1944
	ds_write_b32 v8, v7 offset:9720
	ds_read_b32 v7, v0 offset:2916
	ds_read_b32 v9, v8 offset:8748
	s_waitcnt vmcnt(2)
	v_lshrrev_b32_e32 v10, 16, v13
	s_waitcnt lgkmcnt(0)
	v_add_f16_e32 v11, v7, v9
	v_add_f16_sdwa v12, v9, v7 dst_sel:DWORD dst_unused:UNUSED_PAD src0_sel:WORD_1 src1_sel:WORD_1
	v_sub_f16_e32 v15, v7, v9
	v_sub_f16_sdwa v7, v7, v9 dst_sel:DWORD dst_unused:UNUSED_PAD src0_sel:WORD_1 src1_sel:WORD_1
	;; [unrolled: 21-line block ×3, first 2 shown]
	v_fma_f16 v9, v13, v10, v11
	v_fma_f16 v15, v12, v10, v7
	v_fma_f16 v11, -v13, v10, v11
	v_fma_f16 v7, v12, v10, -v7
	v_fma_f16 v9, -v14, v12, v9
	v_fma_f16 v10, v13, v14, v15
	v_fma_f16 v11, v14, v12, v11
	;; [unrolled: 1-line block ×3, first 2 shown]
	v_pack_b32_f16 v9, v9, v10
	v_pack_b32_f16 v7, v11, v7
	ds_write_b32 v0, v9 offset:3888
	ds_write_b32 v8, v7 offset:7776
	ds_read_b32 v7, v0 offset:4860
	ds_read_b32 v9, v8 offset:6804
	s_waitcnt vmcnt(0)
	v_lshrrev_b32_e32 v12, 16, v6
	v_add_u32_e32 v11, 0xf00, v0
	v_add_u32_e32 v10, 0x1e40, v0
	s_waitcnt lgkmcnt(0)
	v_add_f16_e32 v13, v7, v9
	v_add_f16_sdwa v14, v9, v7 dst_sel:DWORD dst_unused:UNUSED_PAD src0_sel:WORD_1 src1_sel:WORD_1
	v_sub_f16_e32 v15, v7, v9
	v_sub_f16_sdwa v7, v7, v9 dst_sel:DWORD dst_unused:UNUSED_PAD src0_sel:WORD_1 src1_sel:WORD_1
	v_fma_f16 v9, v15, v12, v13
	v_fma_f16 v16, v14, v12, v7
	v_fma_f16 v13, -v15, v12, v13
	v_fma_f16 v7, v14, v12, -v7
	v_fma_f16 v9, -v6, v14, v9
	v_fma_f16 v12, v15, v6, v16
	v_fma_f16 v13, v6, v14, v13
	;; [unrolled: 1-line block ×3, first 2 shown]
	v_pack_b32_f16 v7, v9, v12
	v_pack_b32_f16 v6, v13, v6
	ds_write_b32 v0, v7 offset:4860
	ds_write_b32 v8, v6 offset:6804
	s_waitcnt lgkmcnt(0)
	s_barrier
	s_barrier
	ds_read2_b32 v[6:7], v0 offset1:243
	ds_read2_b32 v[12:13], v11 offset0:12 offset1:255
	ds_read2_b32 v[14:15], v10 offset0:8 offset1:251
	v_add_u32_e32 v9, 0x16c0, v0
	v_add_u32_e32 v8, 0x25e0, v0
	ds_read2_b32 v[16:17], v9 offset0:2 offset1:245
	s_waitcnt lgkmcnt(2)
	v_pk_add_f16 v18, v6, v12
	s_waitcnt lgkmcnt(1)
	v_pk_add_f16 v19, v12, v14
	v_pk_add_f16 v20, v12, v14 neg_lo:[0,1] neg_hi:[0,1]
	v_pk_add_f16 v12, v7, v13
	v_pk_add_f16 v21, v18, v14
	;; [unrolled: 1-line block ×4, first 2 shown]
	v_pk_add_f16 v15, v13, v15 neg_lo:[0,1] neg_hi:[0,1]
	ds_read2_b32 v[13:14], v8 offset0:6 offset1:249
	v_add_u32_e32 v12, 0x780, v0
	v_pk_fma_f16 v6, v19, 0.5, v6 op_sel_hi:[1,0,1] neg_lo:[1,0,0] neg_hi:[1,0,0]
	ds_read2_b32 v[18:19], v12 offset0:6 offset1:249
	v_pk_mul_f16 v20, v20, s4 op_sel_hi:[1,0]
	v_pk_add_f16 v24, v6, v20 op_sel:[0,1] op_sel_hi:[1,0]
	v_pk_add_f16 v6, v6, v20 op_sel:[0,1] op_sel_hi:[1,0] neg_lo:[0,1] neg_hi:[0,1]
	s_waitcnt lgkmcnt(1)
	v_pk_add_f16 v20, v16, v13
	s_waitcnt lgkmcnt(0)
	v_pk_fma_f16 v20, v20, 0.5, v18 op_sel_hi:[1,0,1] neg_lo:[1,0,0] neg_hi:[1,0,0]
	v_pk_add_f16 v25, v16, v13 neg_lo:[0,1] neg_hi:[0,1]
	v_pk_fma_f16 v26, v25, s4, v20 op_sel:[0,0,1] op_sel_hi:[1,0,0]
	v_pk_fma_f16 v20, v25, s4, v20 op_sel:[0,0,1] op_sel_hi:[1,0,0] neg_lo:[1,0,0] neg_hi:[1,0,0]
	v_lshrrev_b32_e32 v25, 16, v26
	v_mul_f16_e32 v27, 0x3aee, v20
	v_fma_f16 v27, v25, 0.5, v27
	v_mul_f16_e32 v25, 0xbaee, v25
	v_fma_f16 v25, v20, 0.5, v25
	v_pk_add_f16 v16, v18, v16
	v_add_f16_e32 v28, v24, v27
	v_add_f16_sdwa v29, v6, v25 dst_sel:DWORD dst_unused:UNUSED_PAD src0_sel:WORD_1 src1_sel:DWORD
	v_pk_add_f16 v13, v16, v13
	v_pack_b32_f16 v28, v28, v29
	v_mad_u32_u24 v16, v5, 20, v0
	v_pk_add_f16 v18, v21, v13
	s_barrier
	ds_write2_b32 v16, v18, v28 offset1:1
	v_bfi_b32 v18, s5, v26, v20
	v_pk_mul_f16 v20, v18, 0.5 op_sel_hi:[1,0]
	v_pk_fma_f16 v18, v18, s6, v20 op_sel:[0,0,1] op_sel_hi:[1,1,0] neg_lo:[0,0,1] neg_hi:[0,0,1]
	v_bfi_b32 v20, s5, v6, v24
	v_pk_add_f16 v13, v21, v13 neg_lo:[0,1] neg_hi:[0,1]
	v_pk_add_f16 v20, v20, v18
	ds_write2_b32 v16, v20, v13 offset0:2 offset1:3
	v_sub_f16_sdwa v20, v24, v18 dst_sel:DWORD dst_unused:UNUSED_PAD src0_sel:WORD_1 src1_sel:WORD_1
	v_pack_b32_f16 v18, v25, v18
	v_sub_f16_e32 v13, v24, v27
	v_pk_add_f16 v6, v6, v18 op_sel:[1,0] op_sel_hi:[0,1] neg_lo:[0,1] neg_hi:[0,1]
	v_alignbit_b32 v18, v20, v6, 16
	v_pack_b32_f16 v6, v13, v6
	ds_write2_b32 v16, v6, v18 offset0:4 offset1:5
	v_pk_add_f16 v13, v17, v14
	v_pk_add_f16 v18, v19, v17
	v_pk_fma_f16 v6, v23, 0.5, v7 op_sel_hi:[1,0,1] neg_lo:[1,0,0] neg_hi:[1,0,0]
	v_pk_fma_f16 v13, v13, 0.5, v19 op_sel_hi:[1,0,1] neg_lo:[1,0,0] neg_hi:[1,0,0]
	v_pk_add_f16 v18, v18, v14
	v_pk_mul_f16 v15, v15, s4 op_sel_hi:[1,0]
	v_pk_add_f16 v14, v17, v14 neg_lo:[0,1] neg_hi:[0,1]
	v_pk_add_f16 v19, v6, v15 op_sel:[0,1] op_sel_hi:[1,0]
	v_pk_add_f16 v6, v6, v15 op_sel:[0,1] op_sel_hi:[1,0] neg_lo:[0,1] neg_hi:[0,1]
	v_pk_fma_f16 v15, v14, s4, v13 op_sel:[0,0,1] op_sel_hi:[1,0,0]
	v_pk_fma_f16 v13, v14, s4, v13 op_sel:[0,0,1] op_sel_hi:[1,0,0] neg_lo:[1,0,0] neg_hi:[1,0,0]
	v_lshrrev_b32_e32 v17, 16, v15
	v_mul_f16_e32 v14, 0x3aee, v13
	v_fma_f16 v14, v17, 0.5, v14
	v_mul_f16_e32 v17, 0xbaee, v17
	v_fma_f16 v17, v13, 0.5, v17
	v_add_f16_e32 v20, v19, v14
	v_add_f16_sdwa v21, v6, v17 dst_sel:DWORD dst_unused:UNUSED_PAD src0_sel:WORD_1 src1_sel:DWORD
	v_bfi_b32 v13, s5, v15, v13
	v_add_u32_e32 v7, 0x16c8, v16
	v_pack_b32_f16 v20, v20, v21
	v_pk_add_f16 v21, v22, v18
	v_pk_mul_f16 v15, v13, 0.5 op_sel_hi:[1,0]
	ds_write2_b32 v7, v21, v20 offset1:1
	v_bfi_b32 v20, s5, v6, v19
	v_pk_fma_f16 v13, v13, s6, v15 op_sel:[0,0,1] op_sel_hi:[1,1,0] neg_lo:[0,0,1] neg_hi:[0,0,1]
	v_pk_add_f16 v15, v20, v13
	v_sub_f16_e32 v14, v19, v14
	v_sub_f16_sdwa v19, v19, v13 dst_sel:DWORD dst_unused:UNUSED_PAD src0_sel:WORD_1 src1_sel:WORD_1
	v_pack_b32_f16 v13, v17, v13
	v_add_u32_e32 v7, 0x16d0, v16
	v_pk_add_f16 v18, v22, v18 neg_lo:[0,1] neg_hi:[0,1]
	v_pk_add_f16 v6, v6, v13 op_sel:[1,0] op_sel_hi:[0,1] neg_lo:[0,1] neg_hi:[0,1]
	ds_write2_b32 v7, v15, v18 offset1:1
	v_add_u32_e32 v7, 0x16d8, v16
	v_alignbit_b32 v13, v19, v6, 16
	v_pack_b32_f16 v6, v14, v6
	s_movk_i32 s5, 0xab
	ds_write2_b32 v7, v6, v13 offset1:1
	v_mul_lo_u16_sdwa v6, v5, s5 dst_sel:DWORD dst_unused:UNUSED_PAD src0_sel:BYTE_0 src1_sel:DWORD
	v_lshrrev_b16_e32 v26, 10, v6
	v_mul_lo_u16_e32 v6, 6, v26
	v_sub_u16_e32 v27, v5, v6
	v_mov_b32_e32 v6, 5
	v_mul_u32_u24_sdwa v6, v27, v6 dst_sel:DWORD dst_unused:UNUSED_PAD src0_sel:BYTE_0 src1_sel:DWORD
	v_lshlrev_b32_e32 v6, 2, v6
	s_waitcnt lgkmcnt(0)
	s_barrier
	global_load_dwordx4 v[14:17], v6, s[12:13]
	s_mov_b32 s5, 0xaaab
	v_add_u32_e32 v13, 0xf3, v5
	v_mul_u32_u24_sdwa v7, v13, s5 dst_sel:DWORD dst_unused:UNUSED_PAD src0_sel:WORD_0 src1_sel:DWORD
	v_lshrrev_b32_e32 v28, 18, v7
	v_mul_lo_u16_e32 v7, 6, v28
	v_sub_u16_e32 v29, v13, v7
	v_mul_u32_u24_e32 v7, 5, v29
	v_lshlrev_b32_e32 v30, 2, v7
	global_load_dwordx4 v[18:21], v30, s[12:13]
	global_load_dword v31, v6, s[12:13] offset:16
	ds_read2_b32 v[6:7], v12 offset0:6 offset1:249
	global_load_dword v30, v30, s[12:13] offset:16
	ds_read2_b32 v[22:23], v11 offset0:12 offset1:255
	s_mov_b32 s5, 0xbaee
	v_mul_u32_u24_e32 v26, 0x90, v26
	s_waitcnt lgkmcnt(1)
	v_lshrrev_b32_e32 v24, 16, v6
	s_mov_b32 s6, 0xe38f
	s_waitcnt vmcnt(3)
	v_mul_f16_sdwa v25, v14, v24 dst_sel:DWORD dst_unused:UNUSED_PAD src0_sel:WORD_1 src1_sel:DWORD
	v_fma_f16 v32, v14, v6, -v25
	v_mul_f16_sdwa v6, v14, v6 dst_sel:DWORD dst_unused:UNUSED_PAD src0_sel:WORD_1 src1_sel:DWORD
	v_fma_f16 v33, v14, v24, v6
	s_waitcnt lgkmcnt(0)
	v_lshrrev_b32_e32 v6, 16, v22
	ds_read2_b32 v[24:25], v9 offset0:2 offset1:245
	v_mul_f16_sdwa v14, v15, v22 dst_sel:DWORD dst_unused:UNUSED_PAD src0_sel:WORD_1 src1_sel:DWORD
	v_fma_f16 v34, v15, v6, v14
	v_mul_f16_sdwa v6, v15, v6 dst_sel:DWORD dst_unused:UNUSED_PAD src0_sel:WORD_1 src1_sel:DWORD
	v_fma_f16 v22, v15, v22, -v6
	ds_read2_b32 v[14:15], v10 offset0:8 offset1:251
	s_waitcnt lgkmcnt(1)
	v_lshrrev_b32_e32 v6, 16, v24
	v_mul_f16_sdwa v35, v16, v24 dst_sel:DWORD dst_unused:UNUSED_PAD src0_sel:WORD_1 src1_sel:DWORD
	v_fma_f16 v35, v16, v6, v35
	v_mul_f16_sdwa v6, v16, v6 dst_sel:DWORD dst_unused:UNUSED_PAD src0_sel:WORD_1 src1_sel:DWORD
	v_fma_f16 v16, v16, v24, -v6
	s_waitcnt lgkmcnt(0)
	v_lshrrev_b32_e32 v6, 16, v14
	v_mul_f16_sdwa v24, v17, v14 dst_sel:DWORD dst_unused:UNUSED_PAD src0_sel:WORD_1 src1_sel:DWORD
	v_fma_f16 v24, v17, v6, v24
	v_mul_f16_sdwa v6, v17, v6 dst_sel:DWORD dst_unused:UNUSED_PAD src0_sel:WORD_1 src1_sel:DWORD
	v_fma_f16 v17, v17, v14, -v6
	v_lshrrev_b32_e32 v6, 16, v7
	s_waitcnt vmcnt(2)
	v_mul_f16_sdwa v14, v6, v18 dst_sel:DWORD dst_unused:UNUSED_PAD src0_sel:DWORD src1_sel:WORD_1
	v_fma_f16 v36, v7, v18, -v14
	v_mul_f16_sdwa v7, v7, v18 dst_sel:DWORD dst_unused:UNUSED_PAD src0_sel:DWORD src1_sel:WORD_1
	v_fma_f16 v18, v6, v18, v7
	v_lshrrev_b32_e32 v6, 16, v23
	v_mul_f16_sdwa v7, v6, v19 dst_sel:DWORD dst_unused:UNUSED_PAD src0_sel:DWORD src1_sel:WORD_1
	v_fma_f16 v37, v23, v19, -v7
	v_mul_f16_sdwa v7, v23, v19 dst_sel:DWORD dst_unused:UNUSED_PAD src0_sel:DWORD src1_sel:WORD_1
	v_fma_f16 v19, v6, v19, v7
	v_lshrrev_b32_e32 v6, 16, v25
	v_mul_f16_sdwa v7, v6, v20 dst_sel:DWORD dst_unused:UNUSED_PAD src0_sel:DWORD src1_sel:WORD_1
	v_fma_f16 v23, v25, v20, -v7
	v_mul_f16_sdwa v7, v25, v20 dst_sel:DWORD dst_unused:UNUSED_PAD src0_sel:DWORD src1_sel:WORD_1
	v_lshrrev_b32_e32 v14, 16, v15
	v_fma_f16 v20, v6, v20, v7
	ds_read2_b32 v[6:7], v8 offset0:6 offset1:249
	v_mul_f16_sdwa v25, v14, v21 dst_sel:DWORD dst_unused:UNUSED_PAD src0_sel:DWORD src1_sel:WORD_1
	v_fma_f16 v25, v15, v21, -v25
	v_mul_f16_sdwa v15, v15, v21 dst_sel:DWORD dst_unused:UNUSED_PAD src0_sel:DWORD src1_sel:WORD_1
	v_fma_f16 v21, v14, v21, v15
	ds_read2_b32 v[14:15], v0 offset1:243
	s_waitcnt lgkmcnt(1)
	v_lshrrev_b32_e32 v38, 16, v6
	s_waitcnt vmcnt(1)
	v_mul_f16_sdwa v39, v31, v6 dst_sel:DWORD dst_unused:UNUSED_PAD src0_sel:WORD_1 src1_sel:DWORD
	v_fma_f16 v39, v31, v38, v39
	v_mul_f16_sdwa v38, v31, v38 dst_sel:DWORD dst_unused:UNUSED_PAD src0_sel:WORD_1 src1_sel:DWORD
	v_fma_f16 v6, v31, v6, -v38
	s_waitcnt lgkmcnt(0)
	v_lshrrev_b32_e32 v31, 16, v14
	v_add_f16_e32 v38, v31, v34
	v_add_f16_e32 v38, v38, v24
	v_sub_f16_e32 v40, v34, v24
	v_add_f16_e32 v24, v34, v24
	v_fma_f16 v24, v24, -0.5, v31
	v_add_f16_e32 v31, v14, v22
	v_add_f16_e32 v31, v31, v17
	;; [unrolled: 1-line block ×3, first 2 shown]
	v_sub_f16_e32 v17, v22, v17
	v_add_f16_e32 v22, v33, v35
	v_sub_f16_e32 v41, v35, v39
	v_add_f16_e32 v35, v35, v39
	v_fma_f16 v33, v35, -0.5, v33
	v_add_f16_e32 v35, v16, v6
	v_fma_f16 v35, v35, -0.5, v32
	v_add_f16_e32 v32, v32, v16
	v_sub_f16_e32 v16, v16, v6
	v_add_f16_e32 v22, v22, v39
	v_fma_f16 v39, v16, s5, v33
	v_add_f16_e32 v32, v32, v6
	v_fma_f16 v6, v41, s4, v35
	v_mul_f16_e32 v42, 0x3aee, v39
	v_fma_f16 v42, v6, 0.5, v42
	v_mul_f16_e32 v6, 0xbaee, v6
	v_fma_f16 v39, v39, 0.5, v6
	v_mov_b32_e32 v6, 2
	v_lshlrev_b32_sdwa v27, v6, v27 dst_sel:DWORD dst_unused:UNUSED_PAD src0_sel:DWORD src1_sel:BYTE_0
	v_add3_u32 v26, 0, v26, v27
	v_add_f16_e32 v27, v31, v32
	v_add_f16_e32 v43, v38, v22
	v_fma_f16 v14, v34, -0.5, v14
	v_pack_b32_f16 v27, v27, v43
	v_fma_f16 v34, v40, s4, v14
	v_fma_f16 v43, v17, s5, v24
	v_add_f16_e32 v44, v34, v42
	v_add_f16_e32 v45, v43, v39
	v_pack_b32_f16 v44, v44, v45
	v_fma_f16 v17, v17, s4, v24
	v_fma_f16 v24, v41, s5, v35
	s_waitcnt vmcnt(0)
	s_barrier
	ds_write2_b32 v26, v27, v44 offset1:6
	v_fma_f16 v16, v16, s4, v33
	v_mul_f16_e32 v27, -0.5, v24
	v_fma_f16 v27, v16, s4, v27
	v_mul_f16_e32 v16, -0.5, v16
	v_fma_f16 v14, v40, s5, v14
	v_fma_f16 v16, v24, s5, v16
	v_sub_f16_e32 v24, v31, v32
	v_sub_f16_e32 v22, v38, v22
	v_add_f16_e32 v31, v14, v27
	v_add_f16_e32 v32, v17, v16
	v_pack_b32_f16 v31, v31, v32
	v_pack_b32_f16 v22, v24, v22
	ds_write2_b32 v26, v31, v22 offset0:12 offset1:18
	v_sub_f16_e32 v22, v34, v42
	v_sub_f16_e32 v14, v14, v27
	;; [unrolled: 1-line block ×4, first 2 shown]
	v_pack_b32_f16 v17, v22, v24
	v_pack_b32_f16 v14, v14, v16
	ds_write2_b32 v26, v17, v14 offset0:24 offset1:30
	v_lshrrev_b32_e32 v14, 16, v7
	v_mul_f16_sdwa v16, v14, v30 dst_sel:DWORD dst_unused:UNUSED_PAD src0_sel:DWORD src1_sel:WORD_1
	v_fma_f16 v16, v7, v30, -v16
	v_mul_f16_sdwa v7, v7, v30 dst_sel:DWORD dst_unused:UNUSED_PAD src0_sel:DWORD src1_sel:WORD_1
	v_lshrrev_b32_e32 v17, 16, v15
	v_fma_f16 v7, v14, v30, v7
	v_add_f16_e32 v14, v37, v25
	v_add_f16_e32 v22, v17, v19
	v_fma_f16 v14, v14, -0.5, v15
	v_add_f16_e32 v15, v15, v37
	v_add_f16_e32 v22, v22, v21
	v_sub_f16_e32 v24, v19, v21
	v_add_f16_e32 v19, v19, v21
	v_add_f16_e32 v21, v18, v20
	v_fma_f16 v17, v19, -0.5, v17
	v_add_f16_e32 v15, v15, v25
	v_sub_f16_e32 v19, v37, v25
	v_add_f16_e32 v21, v21, v7
	v_sub_f16_e32 v25, v20, v7
	v_add_f16_e32 v7, v20, v7
	v_add_f16_e32 v20, v36, v23
	v_fma_f16 v7, v7, -0.5, v18
	v_add_f16_e32 v18, v23, v16
	v_add_f16_e32 v20, v20, v16
	v_sub_f16_e32 v16, v23, v16
	v_fma_f16 v18, v18, -0.5, v36
	v_fma_f16 v26, v16, s5, v7
	v_fma_f16 v23, v25, s4, v18
	v_mul_f16_e32 v27, 0x3aee, v26
	v_fma_f16 v27, v23, 0.5, v27
	v_mul_f16_e32 v23, 0xbaee, v23
	v_fma_f16 v18, v25, s5, v18
	v_fma_f16 v23, v26, 0.5, v23
	v_mul_u32_u24_e32 v26, 0x90, v28
	v_lshlrev_b32_e32 v28, 2, v29
	v_fma_f16 v7, v16, s4, v7
	v_mul_f16_e32 v16, -0.5, v18
	v_add3_u32 v26, 0, v26, v28
	v_add_f16_e32 v28, v15, v20
	v_add_f16_e32 v29, v22, v21
	v_fma_f16 v16, v7, s4, v16
	v_mul_f16_e32 v7, -0.5, v7
	v_pack_b32_f16 v28, v28, v29
	v_fma_f16 v29, v24, s4, v14
	v_fma_f16 v30, v19, s5, v17
	;; [unrolled: 1-line block ×5, first 2 shown]
	v_sub_f16_e32 v15, v15, v20
	v_add_f16_e32 v19, v14, v16
	v_sub_f16_e32 v14, v14, v16
	v_sub_f16_e32 v16, v22, v21
	v_add_f16_e32 v21, v17, v7
	v_sub_f16_e32 v18, v29, v27
	v_sub_f16_e32 v20, v30, v23
	;; [unrolled: 1-line block ×3, first 2 shown]
	v_pack_b32_f16 v17, v19, v21
	v_pack_b32_f16 v15, v15, v16
	ds_write2_b32 v26, v17, v15 offset0:12 offset1:18
	v_pack_b32_f16 v15, v18, v20
	v_pack_b32_f16 v7, v14, v7
	ds_write2_b32 v26, v15, v7 offset0:24 offset1:30
	v_mov_b32_e32 v7, 57
	v_mul_lo_u16_sdwa v7, v5, v7 dst_sel:DWORD dst_unused:UNUSED_PAD src0_sel:BYTE_0 src1_sel:DWORD
	v_add_f16_e32 v31, v29, v27
	v_add_f16_e32 v32, v30, v23
	v_lshrrev_b16_e32 v7, 11, v7
	v_pack_b32_f16 v31, v31, v32
	v_mul_lo_u16_e32 v14, 36, v7
	ds_write2_b32 v26, v28, v31 offset1:6
	v_sub_u16_e32 v28, v5, v14
	v_mov_b32_e32 v29, 3
	v_lshlrev_b32_sdwa v14, v29, v28 dst_sel:DWORD dst_unused:UNUSED_PAD src0_sel:DWORD src1_sel:BYTE_0
	s_waitcnt lgkmcnt(0)
	s_barrier
	global_load_dwordx2 v[16:17], v14, s[12:13] offset:120
	v_mul_u32_u24_sdwa v14, v13, s6 dst_sel:DWORD dst_unused:UNUSED_PAD src0_sel:WORD_0 src1_sel:DWORD
	v_lshrrev_b32_e32 v30, 21, v14
	v_mul_lo_u16_e32 v14, 36, v30
	v_sub_u16_e32 v31, v13, v14
	v_lshlrev_b32_e32 v14, 3, v31
	global_load_dwordx2 v[18:19], v14, s[12:13] offset:120
	v_add_u32_e32 v15, 0x1e6, v5
	v_mul_u32_u24_sdwa v14, v15, s6 dst_sel:DWORD dst_unused:UNUSED_PAD src0_sel:WORD_0 src1_sel:DWORD
	v_lshrrev_b32_e32 v32, 21, v14
	v_mul_lo_u16_e32 v14, 36, v32
	v_sub_u16_e32 v33, v15, v14
	v_lshlrev_b32_e32 v14, 3, v33
	global_load_dwordx2 v[20:21], v14, s[12:13] offset:120
	v_add_u32_e32 v14, 0x2d9, v5
	v_mul_u32_u24_sdwa v22, v14, s6 dst_sel:DWORD dst_unused:UNUSED_PAD src0_sel:WORD_0 src1_sel:DWORD
	v_lshrrev_b32_e32 v34, 21, v22
	v_mul_lo_u16_e32 v22, 36, v34
	v_sub_u16_e32 v35, v14, v22
	v_lshlrev_b32_e32 v22, 3, v35
	global_load_dwordx2 v[22:23], v22, s[12:13] offset:120
	ds_read2_b32 v[24:25], v11 offset0:12 offset1:255
	ds_read2_b32 v[26:27], v10 offset0:8 offset1:251
	v_mul_u32_u24_e32 v7, 0x1b0, v7
	s_movk_i32 s6, 0x6523
	s_waitcnt lgkmcnt(1)
	v_lshrrev_b32_e32 v36, 16, v24
	s_waitcnt vmcnt(3)
	v_mul_f16_sdwa v37, v16, v24 dst_sel:DWORD dst_unused:UNUSED_PAD src0_sel:WORD_1 src1_sel:DWORD
	v_fma_f16 v37, v16, v36, v37
	v_mul_f16_sdwa v36, v16, v36 dst_sel:DWORD dst_unused:UNUSED_PAD src0_sel:WORD_1 src1_sel:DWORD
	v_fma_f16 v24, v16, v24, -v36
	s_waitcnt lgkmcnt(0)
	v_lshrrev_b32_e32 v16, 16, v26
	v_mul_f16_sdwa v36, v17, v26 dst_sel:DWORD dst_unused:UNUSED_PAD src0_sel:WORD_1 src1_sel:DWORD
	v_fma_f16 v36, v17, v16, v36
	v_mul_f16_sdwa v16, v17, v16 dst_sel:DWORD dst_unused:UNUSED_PAD src0_sel:WORD_1 src1_sel:DWORD
	v_fma_f16 v26, v17, v26, -v16
	v_lshrrev_b32_e32 v16, 16, v25
	s_waitcnt vmcnt(2)
	v_mul_f16_sdwa v17, v18, v16 dst_sel:DWORD dst_unused:UNUSED_PAD src0_sel:WORD_1 src1_sel:DWORD
	v_fma_f16 v38, v18, v25, -v17
	v_mul_f16_sdwa v17, v18, v25 dst_sel:DWORD dst_unused:UNUSED_PAD src0_sel:WORD_1 src1_sel:DWORD
	v_fma_f16 v25, v18, v16, v17
	v_lshrrev_b32_e32 v18, 16, v27
	ds_read2_b32 v[16:17], v9 offset0:2 offset1:245
	v_mul_f16_sdwa v39, v19, v18 dst_sel:DWORD dst_unused:UNUSED_PAD src0_sel:WORD_1 src1_sel:DWORD
	v_fma_f16 v39, v19, v27, -v39
	v_mul_f16_sdwa v27, v19, v27 dst_sel:DWORD dst_unused:UNUSED_PAD src0_sel:WORD_1 src1_sel:DWORD
	v_fma_f16 v27, v19, v18, v27
	ds_read2_b32 v[18:19], v8 offset0:6 offset1:249
	s_waitcnt lgkmcnt(1)
	v_lshrrev_b32_e32 v40, 16, v16
	s_waitcnt vmcnt(1)
	v_mul_f16_sdwa v41, v20, v16 dst_sel:DWORD dst_unused:UNUSED_PAD src0_sel:WORD_1 src1_sel:DWORD
	v_fma_f16 v41, v20, v40, v41
	v_mul_f16_sdwa v40, v20, v40 dst_sel:DWORD dst_unused:UNUSED_PAD src0_sel:WORD_1 src1_sel:DWORD
	v_fma_f16 v20, v20, v16, -v40
	s_waitcnt lgkmcnt(0)
	v_lshrrev_b32_e32 v16, 16, v18
	v_mul_f16_sdwa v40, v18, v21 dst_sel:DWORD dst_unused:UNUSED_PAD src0_sel:DWORD src1_sel:WORD_1
	v_fma_f16 v40, v16, v21, v40
	v_mul_f16_sdwa v16, v16, v21 dst_sel:DWORD dst_unused:UNUSED_PAD src0_sel:DWORD src1_sel:WORD_1
	v_fma_f16 v21, v18, v21, -v16
	v_lshrrev_b32_e32 v16, 16, v17
	s_waitcnt vmcnt(0)
	v_mul_f16_sdwa v18, v16, v22 dst_sel:DWORD dst_unused:UNUSED_PAD src0_sel:DWORD src1_sel:WORD_1
	v_fma_f16 v42, v17, v22, -v18
	v_mul_f16_sdwa v17, v17, v22 dst_sel:DWORD dst_unused:UNUSED_PAD src0_sel:DWORD src1_sel:WORD_1
	v_fma_f16 v22, v16, v22, v17
	ds_read2_b32 v[16:17], v0 offset1:243
	v_lshrrev_b32_e32 v18, 16, v19
	v_mul_f16_sdwa v43, v18, v23 dst_sel:DWORD dst_unused:UNUSED_PAD src0_sel:DWORD src1_sel:WORD_1
	v_fma_f16 v43, v19, v23, -v43
	v_mul_f16_sdwa v19, v19, v23 dst_sel:DWORD dst_unused:UNUSED_PAD src0_sel:DWORD src1_sel:WORD_1
	v_fma_f16 v23, v18, v23, v19
	s_waitcnt lgkmcnt(0)
	v_lshrrev_b32_e32 v18, 16, v16
	v_add_f16_e32 v19, v18, v37
	v_add_f16_e32 v19, v19, v36
	v_sub_f16_e32 v44, v37, v36
	v_add_f16_e32 v36, v37, v36
	v_fma_f16 v36, v36, -0.5, v18
	v_add_f16_e32 v18, v16, v24
	v_add_f16_e32 v37, v24, v26
	;; [unrolled: 1-line block ×3, first 2 shown]
	v_sub_f16_e32 v24, v24, v26
	v_lshlrev_b32_sdwa v26, v6, v28 dst_sel:DWORD dst_unused:UNUSED_PAD src0_sel:DWORD src1_sel:BYTE_0
	v_fma_f16 v16, v37, -0.5, v16
	v_add3_u32 v7, 0, v7, v26
	v_pack_b32_f16 v26, v18, v19
	v_fma_f16 v18, v44, s4, v16
	v_fma_f16 v19, v24, s5, v36
	;; [unrolled: 1-line block ×4, first 2 shown]
	v_pack_b32_f16 v28, v18, v19
	v_pack_b32_f16 v16, v16, v24
	ds_read2_b32 v[18:19], v12 offset0:6 offset1:249
	s_waitcnt lgkmcnt(0)
	s_barrier
	ds_write2_b32 v7, v26, v28 offset1:36
	ds_write_b32 v7, v16 offset:288
	v_add_f16_e32 v7, v38, v39
	v_lshrrev_b32_e32 v16, 16, v17
	v_fma_f16 v7, v7, -0.5, v17
	v_add_f16_e32 v17, v17, v38
	v_add_f16_e32 v24, v16, v25
	v_sub_f16_e32 v26, v25, v27
	v_add_f16_e32 v25, v25, v27
	v_add_f16_e32 v24, v24, v27
	v_fma_f16 v16, v25, -0.5, v16
	v_add_f16_e32 v17, v17, v39
	v_sub_f16_e32 v25, v38, v39
	v_mul_u32_u24_e32 v27, 0x1b0, v30
	v_lshlrev_b32_e32 v28, 2, v31
	v_add3_u32 v27, 0, v27, v28
	v_pack_b32_f16 v17, v17, v24
	v_fma_f16 v24, v26, s4, v7
	v_fma_f16 v28, v25, s5, v16
	;; [unrolled: 1-line block ×4, first 2 shown]
	v_pack_b32_f16 v24, v24, v28
	v_pack_b32_f16 v7, v7, v16
	ds_write2_b32 v27, v17, v24 offset1:36
	ds_write_b32 v27, v7 offset:288
	v_lshrrev_b32_e32 v7, 16, v18
	v_add_f16_e32 v24, v41, v40
	v_add_f16_e32 v16, v7, v41
	v_fma_f16 v7, v24, -0.5, v7
	v_add_f16_e32 v24, v18, v20
	v_add_f16_e32 v25, v20, v21
	;; [unrolled: 1-line block ×3, first 2 shown]
	v_sub_f16_e32 v17, v41, v40
	v_add_f16_e32 v24, v24, v21
	v_sub_f16_e32 v20, v20, v21
	v_fma_f16 v18, v25, -0.5, v18
	v_mul_u32_u24_e32 v21, 0x1b0, v32
	v_lshlrev_b32_e32 v26, 2, v33
	v_pack_b32_f16 v16, v24, v16
	v_fma_f16 v24, v17, s4, v18
	v_fma_f16 v25, v20, s5, v7
	v_add3_u32 v21, 0, v21, v26
	v_pack_b32_f16 v24, v24, v25
	ds_write2_b32 v21, v16, v24 offset1:36
	v_fma_f16 v16, v17, s5, v18
	v_fma_f16 v7, v20, s4, v7
	v_pack_b32_f16 v7, v16, v7
	ds_write_b32 v21, v7 offset:288
	v_add_f16_e32 v7, v42, v43
	v_fma_f16 v7, v7, -0.5, v19
	v_lshrrev_b32_e32 v16, 16, v19
	v_sub_f16_e32 v18, v22, v23
	v_add_f16_e32 v20, v22, v23
	v_add_f16_e32 v17, v19, v42
	v_fma_f16 v19, v18, s4, v7
	v_fma_f16 v7, v18, s5, v7
	v_add_f16_e32 v18, v16, v22
	v_fma_f16 v16, v20, -0.5, v16
	v_sub_f16_e32 v20, v42, v43
	v_fma_f16 v21, v20, s5, v16
	v_fma_f16 v16, v20, s4, v16
	v_mul_u32_u24_e32 v20, 0x1b0, v34
	v_lshlrev_b32_e32 v22, 2, v35
	v_add3_u32 v20, 0, v20, v22
	v_pack_b32_f16 v7, v7, v16
	ds_write_b32 v20, v7 offset:288
	v_mov_b32_e32 v7, 19
	v_mul_lo_u16_sdwa v7, v5, v7 dst_sel:DWORD dst_unused:UNUSED_PAD src0_sel:BYTE_0 src1_sel:DWORD
	v_lshrrev_b16_e32 v7, 11, v7
	v_add_f16_e32 v18, v18, v23
	v_add_f16_e32 v17, v17, v43
	v_mul_lo_u16_e32 v16, 0x6c, v7
	v_pack_b32_f16 v17, v17, v18
	v_pack_b32_f16 v18, v19, v21
	v_sub_u16_e32 v28, v5, v16
	ds_write2_b32 v20, v17, v18 offset1:36
	v_lshlrev_b32_sdwa v16, v29, v28 dst_sel:DWORD dst_unused:UNUSED_PAD src0_sel:DWORD src1_sel:BYTE_0
	v_lshrrev_b16_e32 v18, 2, v13
	s_waitcnt lgkmcnt(0)
	s_barrier
	global_load_dwordx2 v[16:17], v16, s[12:13] offset:408
	v_mul_u32_u24_e32 v18, 0x4bdb, v18
	v_lshrrev_b32_e32 v29, 19, v18
	v_mul_lo_u16_e32 v18, 0x6c, v29
	v_sub_u16_e32 v30, v13, v18
	v_lshlrev_b32_e32 v18, 3, v30
	global_load_dwordx2 v[18:19], v18, s[12:13] offset:408
	v_lshrrev_b16_e32 v20, 2, v15
	v_mul_u32_u24_e32 v20, 0x4bdb, v20
	v_lshrrev_b32_e32 v31, 19, v20
	v_mul_lo_u16_e32 v20, 0x6c, v31
	v_sub_u16_e32 v32, v15, v20
	v_lshlrev_b32_e32 v20, 3, v32
	global_load_dwordx2 v[20:21], v20, s[12:13] offset:408
	v_lshrrev_b16_e32 v22, 2, v14
	v_mul_u32_u24_e32 v22, 0x4bdb, v22
	v_lshrrev_b32_e32 v33, 19, v22
	v_mul_lo_u16_e32 v22, 0x6c, v33
	v_sub_u16_e32 v34, v14, v22
	v_lshlrev_b32_e32 v22, 3, v34
	global_load_dwordx2 v[22:23], v22, s[12:13] offset:408
	ds_read2_b32 v[24:25], v11 offset0:12 offset1:255
	ds_read2_b32 v[26:27], v10 offset0:8 offset1:251
	v_lshlrev_b32_sdwa v6, v6, v28 dst_sel:DWORD dst_unused:UNUSED_PAD src0_sel:DWORD src1_sel:BYTE_0
	v_mul_u32_u24_e32 v7, 0x510, v7
	s_waitcnt lgkmcnt(1)
	v_lshrrev_b32_e32 v35, 16, v24
	s_waitcnt vmcnt(3)
	v_mul_f16_sdwa v36, v16, v24 dst_sel:DWORD dst_unused:UNUSED_PAD src0_sel:WORD_1 src1_sel:DWORD
	v_fma_f16 v36, v16, v35, v36
	v_mul_f16_sdwa v35, v16, v35 dst_sel:DWORD dst_unused:UNUSED_PAD src0_sel:WORD_1 src1_sel:DWORD
	v_fma_f16 v24, v16, v24, -v35
	s_waitcnt lgkmcnt(0)
	v_lshrrev_b32_e32 v16, 16, v26
	v_mul_f16_sdwa v35, v17, v26 dst_sel:DWORD dst_unused:UNUSED_PAD src0_sel:WORD_1 src1_sel:DWORD
	v_fma_f16 v35, v17, v16, v35
	v_mul_f16_sdwa v16, v17, v16 dst_sel:DWORD dst_unused:UNUSED_PAD src0_sel:WORD_1 src1_sel:DWORD
	v_fma_f16 v26, v17, v26, -v16
	v_lshrrev_b32_e32 v16, 16, v25
	s_waitcnt vmcnt(2)
	v_mul_f16_sdwa v17, v18, v16 dst_sel:DWORD dst_unused:UNUSED_PAD src0_sel:WORD_1 src1_sel:DWORD
	v_fma_f16 v37, v18, v25, -v17
	v_mul_f16_sdwa v17, v18, v25 dst_sel:DWORD dst_unused:UNUSED_PAD src0_sel:WORD_1 src1_sel:DWORD
	v_fma_f16 v25, v18, v16, v17
	v_lshrrev_b32_e32 v18, 16, v27
	ds_read2_b32 v[16:17], v9 offset0:2 offset1:245
	v_mul_f16_sdwa v38, v19, v18 dst_sel:DWORD dst_unused:UNUSED_PAD src0_sel:WORD_1 src1_sel:DWORD
	v_fma_f16 v38, v19, v27, -v38
	v_mul_f16_sdwa v27, v19, v27 dst_sel:DWORD dst_unused:UNUSED_PAD src0_sel:WORD_1 src1_sel:DWORD
	v_fma_f16 v27, v19, v18, v27
	ds_read2_b32 v[18:19], v8 offset0:6 offset1:249
	s_waitcnt lgkmcnt(1)
	v_lshrrev_b32_e32 v39, 16, v16
	s_waitcnt vmcnt(1)
	v_mul_f16_sdwa v40, v20, v16 dst_sel:DWORD dst_unused:UNUSED_PAD src0_sel:WORD_1 src1_sel:DWORD
	v_fma_f16 v40, v20, v39, v40
	v_mul_f16_sdwa v39, v20, v39 dst_sel:DWORD dst_unused:UNUSED_PAD src0_sel:WORD_1 src1_sel:DWORD
	v_fma_f16 v20, v20, v16, -v39
	s_waitcnt lgkmcnt(0)
	v_lshrrev_b32_e32 v16, 16, v18
	v_mul_f16_sdwa v39, v18, v21 dst_sel:DWORD dst_unused:UNUSED_PAD src0_sel:DWORD src1_sel:WORD_1
	v_fma_f16 v39, v16, v21, v39
	v_mul_f16_sdwa v16, v16, v21 dst_sel:DWORD dst_unused:UNUSED_PAD src0_sel:DWORD src1_sel:WORD_1
	v_fma_f16 v18, v18, v21, -v16
	v_lshrrev_b32_e32 v16, 16, v17
	s_waitcnt vmcnt(0)
	v_mul_f16_sdwa v21, v16, v22 dst_sel:DWORD dst_unused:UNUSED_PAD src0_sel:DWORD src1_sel:WORD_1
	v_fma_f16 v21, v17, v22, -v21
	v_mul_f16_sdwa v17, v17, v22 dst_sel:DWORD dst_unused:UNUSED_PAD src0_sel:DWORD src1_sel:WORD_1
	v_fma_f16 v22, v16, v22, v17
	ds_read2_b32 v[16:17], v0 offset1:243
	v_lshrrev_b32_e32 v41, 16, v19
	v_mul_f16_sdwa v42, v41, v23 dst_sel:DWORD dst_unused:UNUSED_PAD src0_sel:DWORD src1_sel:WORD_1
	v_fma_f16 v42, v19, v23, -v42
	v_mul_f16_sdwa v19, v19, v23 dst_sel:DWORD dst_unused:UNUSED_PAD src0_sel:DWORD src1_sel:WORD_1
	v_fma_f16 v19, v41, v23, v19
	s_waitcnt lgkmcnt(0)
	v_lshrrev_b32_e32 v23, 16, v16
	v_add_f16_e32 v41, v23, v36
	v_add_f16_e32 v41, v41, v35
	v_sub_f16_e32 v43, v36, v35
	v_add_f16_e32 v35, v36, v35
	v_add_f16_e32 v36, v24, v26
	v_fma_f16 v23, v35, -0.5, v23
	v_add_f16_e32 v35, v16, v24
	v_sub_f16_e32 v24, v24, v26
	v_fma_f16 v16, v36, -0.5, v16
	v_add_f16_e32 v35, v35, v26
	v_add3_u32 v26, 0, v7, v6
	v_fma_f16 v6, v43, s4, v16
	v_fma_f16 v7, v24, s5, v23
	;; [unrolled: 1-line block ×4, first 2 shown]
	v_pack_b32_f16 v16, v16, v23
	v_pack_b32_f16 v28, v35, v41
	;; [unrolled: 1-line block ×3, first 2 shown]
	ds_read2_b32 v[6:7], v12 offset0:6 offset1:249
	s_waitcnt lgkmcnt(0)
	s_barrier
	ds_write_b32 v26, v16 offset:864
	v_add_f16_e32 v16, v37, v38
	v_lshrrev_b32_e32 v23, 16, v17
	ds_write2_b32 v26, v28, v35 offset1:108
	v_fma_f16 v16, v16, -0.5, v17
	v_add_f16_e32 v17, v17, v37
	v_add_f16_e32 v24, v23, v25
	v_sub_f16_e32 v26, v25, v27
	v_add_f16_e32 v25, v25, v27
	v_add_f16_e32 v24, v24, v27
	v_fma_f16 v23, v25, -0.5, v23
	v_add_f16_e32 v17, v17, v38
	v_sub_f16_e32 v25, v37, v38
	v_mul_u32_u24_e32 v27, 0x510, v29
	v_lshlrev_b32_e32 v28, 2, v30
	v_add3_u32 v27, 0, v27, v28
	v_pack_b32_f16 v17, v17, v24
	v_fma_f16 v24, v26, s4, v16
	v_fma_f16 v28, v25, s5, v23
	v_pack_b32_f16 v24, v24, v28
	ds_write2_b32 v27, v17, v24 offset1:108
	v_fma_f16 v16, v26, s5, v16
	v_fma_f16 v17, v25, s4, v23
	v_pack_b32_f16 v16, v16, v17
	ds_write_b32 v27, v16 offset:864
	v_lshrrev_b32_e32 v16, 16, v6
	v_add_f16_e32 v24, v40, v39
	v_add_f16_e32 v17, v16, v40
	v_fma_f16 v16, v24, -0.5, v16
	v_add_f16_e32 v24, v6, v20
	v_add_f16_e32 v25, v20, v18
	;; [unrolled: 1-line block ×3, first 2 shown]
	v_sub_f16_e32 v23, v40, v39
	v_add_f16_e32 v24, v24, v18
	v_sub_f16_e32 v18, v20, v18
	v_fma_f16 v6, v25, -0.5, v6
	v_mul_u32_u24_e32 v20, 0x510, v31
	v_lshlrev_b32_e32 v26, 2, v32
	v_pack_b32_f16 v17, v24, v17
	v_fma_f16 v24, v23, s4, v6
	v_fma_f16 v25, v18, s5, v16
	;; [unrolled: 1-line block ×4, first 2 shown]
	v_add3_u32 v20, 0, v20, v26
	v_pack_b32_f16 v6, v6, v16
	v_pack_b32_f16 v24, v24, v25
	ds_write_b32 v20, v6 offset:864
	v_add_f16_e32 v6, v21, v42
	ds_write2_b32 v20, v17, v24 offset1:108
	v_fma_f16 v6, v6, -0.5, v7
	v_lshrrev_b32_e32 v16, 16, v7
	v_sub_f16_e32 v17, v22, v19
	v_fma_f16 v18, v17, s4, v6
	v_fma_f16 v6, v17, s5, v6
	v_add_f16_e32 v17, v16, v22
	v_add_f16_e32 v17, v17, v19
	;; [unrolled: 1-line block ×4, first 2 shown]
	v_fma_f16 v16, v19, -0.5, v16
	v_sub_f16_e32 v19, v21, v42
	v_add_f16_e32 v7, v7, v42
	v_fma_f16 v20, v19, s5, v16
	v_fma_f16 v16, v19, s4, v16
	v_mul_u32_u24_e32 v19, 0x510, v33
	v_lshlrev_b32_e32 v21, 2, v34
	v_add3_u32 v19, 0, v19, v21
	v_pack_b32_f16 v7, v7, v17
	v_pack_b32_f16 v17, v18, v20
	;; [unrolled: 1-line block ×3, first 2 shown]
	ds_write2_b32 v19, v7, v17 offset1:108
	ds_write_b32 v19, v6 offset:864
	v_lshlrev_b32_e32 v6, 1, v5
	v_mov_b32_e32 v7, 0
	v_mul_u32_u24_sdwa v18, v15, s6 dst_sel:DWORD dst_unused:UNUSED_PAD src0_sel:WORD_0 src1_sel:DWORD
	v_lshlrev_b64 v[16:17], 2, v[6:7]
	v_lshrrev_b32_e32 v31, 23, v18
	v_mul_lo_u16_e32 v18, 0x144, v31
	v_mov_b32_e32 v30, s13
	v_add_co_u32_e32 v16, vcc, s12, v16
	v_sub_u16_e32 v32, v15, v18
	v_mul_u32_u24_sdwa v18, v14, s6 dst_sel:DWORD dst_unused:UNUSED_PAD src0_sel:WORD_0 src1_sel:DWORD
	v_addc_co_u32_e32 v17, vcc, v30, v17, vcc
	v_lshrrev_b32_e32 v18, 23, v18
	s_movk_i32 s6, 0x51
	v_add_u32_e32 v6, 0xffffffaf, v5
	v_mul_lo_u16_e32 v18, 0x144, v18
	v_cmp_gt_u32_e32 vcc, s6, v5
	v_sub_u16_e32 v33, v14, v18
	v_lshlrev_b32_e32 v24, 3, v32
	v_cndmask_b32_e32 v34, v6, v13, vcc
	s_waitcnt lgkmcnt(0)
	s_barrier
	v_lshlrev_b32_e32 v25, 3, v33
	global_load_dwordx2 v[18:19], v24, s[12:13] offset:1272
	global_load_dwordx2 v[20:21], v25, s[12:13] offset:1272
	global_load_dwordx2 v[22:23], v[16:17], off offset:1272
	v_lshlrev_b32_e32 v6, 1, v34
	v_lshlrev_b64 v[24:25], 2, v[6:7]
	ds_read2_b32 v[26:27], v11 offset0:12 offset1:255
	v_add_co_u32_e32 v24, vcc, s12, v24
	v_addc_co_u32_e32 v25, vcc, v30, v25, vcc
	global_load_dwordx2 v[24:25], v[24:25], off offset:1272
	ds_read2_b32 v[28:29], v10 offset0:8 offset1:251
	s_waitcnt lgkmcnt(1)
	v_lshrrev_b32_e32 v6, 16, v26
	s_movk_i32 s6, 0x50
	v_cmp_lt_u32_e32 vcc, s6, v5
	s_waitcnt vmcnt(1)
	v_mul_f16_sdwa v35, v22, v26 dst_sel:DWORD dst_unused:UNUSED_PAD src0_sel:WORD_1 src1_sel:DWORD
	v_fma_f16 v35, v22, v6, v35
	v_mul_f16_sdwa v6, v22, v6 dst_sel:DWORD dst_unused:UNUSED_PAD src0_sel:WORD_1 src1_sel:DWORD
	v_fma_f16 v6, v22, v26, -v6
	s_waitcnt lgkmcnt(0)
	v_lshrrev_b32_e32 v22, 16, v28
	v_mul_f16_sdwa v26, v23, v28 dst_sel:DWORD dst_unused:UNUSED_PAD src0_sel:WORD_1 src1_sel:DWORD
	v_fma_f16 v26, v23, v22, v26
	v_mul_f16_sdwa v22, v23, v22 dst_sel:DWORD dst_unused:UNUSED_PAD src0_sel:WORD_1 src1_sel:DWORD
	v_fma_f16 v28, v23, v28, -v22
	v_lshrrev_b32_e32 v22, 16, v27
	s_waitcnt vmcnt(0)
	v_mul_f16_sdwa v23, v24, v22 dst_sel:DWORD dst_unused:UNUSED_PAD src0_sel:WORD_1 src1_sel:DWORD
	v_fma_f16 v36, v24, v27, -v23
	v_mul_f16_sdwa v23, v24, v27 dst_sel:DWORD dst_unused:UNUSED_PAD src0_sel:WORD_1 src1_sel:DWORD
	v_fma_f16 v27, v24, v22, v23
	v_lshrrev_b32_e32 v24, 16, v29
	ds_read2_b32 v[22:23], v9 offset0:2 offset1:245
	v_mul_f16_sdwa v37, v25, v24 dst_sel:DWORD dst_unused:UNUSED_PAD src0_sel:WORD_1 src1_sel:DWORD
	v_fma_f16 v37, v25, v29, -v37
	v_mul_f16_sdwa v29, v25, v29 dst_sel:DWORD dst_unused:UNUSED_PAD src0_sel:WORD_1 src1_sel:DWORD
	v_fma_f16 v29, v25, v24, v29
	ds_read2_b32 v[24:25], v8 offset0:6 offset1:249
	s_waitcnt lgkmcnt(1)
	v_lshrrev_b32_e32 v38, 16, v22
	v_mul_f16_sdwa v39, v18, v22 dst_sel:DWORD dst_unused:UNUSED_PAD src0_sel:WORD_1 src1_sel:DWORD
	v_fma_f16 v39, v18, v38, v39
	v_mul_f16_sdwa v38, v18, v38 dst_sel:DWORD dst_unused:UNUSED_PAD src0_sel:WORD_1 src1_sel:DWORD
	v_fma_f16 v22, v18, v22, -v38
	s_waitcnt lgkmcnt(0)
	v_lshrrev_b32_e32 v18, 16, v24
	v_mul_f16_sdwa v38, v24, v19 dst_sel:DWORD dst_unused:UNUSED_PAD src0_sel:DWORD src1_sel:WORD_1
	v_fma_f16 v38, v18, v19, v38
	v_mul_f16_sdwa v18, v18, v19 dst_sel:DWORD dst_unused:UNUSED_PAD src0_sel:DWORD src1_sel:WORD_1
	v_fma_f16 v24, v24, v19, -v18
	v_lshrrev_b32_e32 v18, 16, v23
	v_mul_f16_sdwa v19, v18, v20 dst_sel:DWORD dst_unused:UNUSED_PAD src0_sel:DWORD src1_sel:WORD_1
	v_fma_f16 v40, v23, v20, -v19
	v_mul_f16_sdwa v19, v23, v20 dst_sel:DWORD dst_unused:UNUSED_PAD src0_sel:DWORD src1_sel:WORD_1
	v_fma_f16 v20, v18, v20, v19
	ds_read2_b32 v[18:19], v0 offset1:243
	v_lshrrev_b32_e32 v23, 16, v25
	v_mul_f16_sdwa v41, v23, v21 dst_sel:DWORD dst_unused:UNUSED_PAD src0_sel:DWORD src1_sel:WORD_1
	v_fma_f16 v41, v25, v21, -v41
	v_mul_f16_sdwa v25, v25, v21 dst_sel:DWORD dst_unused:UNUSED_PAD src0_sel:DWORD src1_sel:WORD_1
	v_fma_f16 v21, v23, v21, v25
	v_add_f16_e32 v23, v6, v28
	s_waitcnt lgkmcnt(0)
	v_fma_f16 v23, v23, -0.5, v18
	v_sub_f16_e32 v25, v35, v26
	v_fma_f16 v42, v25, s4, v23
	v_fma_f16 v23, v25, s5, v23
	v_lshrrev_b32_e32 v25, 16, v18
	v_add_f16_e32 v43, v25, v35
	v_add_f16_e32 v43, v43, v26
	;; [unrolled: 1-line block ×3, first 2 shown]
	v_fma_f16 v25, v26, -0.5, v25
	v_add_f16_e32 v18, v18, v6
	v_sub_f16_e32 v6, v6, v28
	v_fma_f16 v26, v6, s5, v25
	v_fma_f16 v6, v6, s4, v25
	v_add_f16_e32 v25, v36, v37
	v_add_f16_e32 v18, v18, v28
	v_fma_f16 v25, v25, -0.5, v19
	v_lshrrev_b32_e32 v28, 16, v19
	v_sub_f16_e32 v35, v27, v29
	v_add_f16_e32 v19, v19, v36
	v_fma_f16 v44, v35, s4, v25
	v_fma_f16 v25, v35, s5, v25
	v_add_f16_e32 v35, v28, v27
	v_add_f16_e32 v27, v27, v29
	v_fma_f16 v27, v27, -0.5, v28
	v_add_f16_e32 v28, v19, v37
	v_sub_f16_e32 v19, v36, v37
	v_pack_b32_f16 v6, v23, v6
	v_add_f16_e32 v35, v35, v29
	v_fma_f16 v29, v19, s5, v27
	v_fma_f16 v27, v19, s4, v27
	v_pack_b32_f16 v36, v18, v43
	ds_read2_b32 v[18:19], v12 offset0:6 offset1:249
	s_waitcnt lgkmcnt(0)
	s_barrier
	ds_write_b32 v0, v6 offset:2592
	v_mov_b32_e32 v6, 0xf30
	v_cndmask_b32_e32 v6, 0, v6, vcc
	v_lshlrev_b32_e32 v23, 2, v34
	v_pack_b32_f16 v26, v42, v26
	v_add3_u32 v6, 0, v6, v23
	v_pack_b32_f16 v23, v28, v35
	ds_write_b32 v0, v36
	ds_write_b32 v0, v26 offset:1296
	ds_write_b32 v6, v23
	v_pack_b32_f16 v23, v44, v29
	ds_write_b32 v6, v23 offset:1296
	v_pack_b32_f16 v23, v25, v27
	ds_write_b32 v6, v23 offset:2592
	v_add_f16_e32 v6, v22, v24
	v_fma_f16 v6, v6, -0.5, v18
	v_sub_f16_e32 v23, v39, v38
	v_fma_f16 v25, v23, s4, v6
	v_fma_f16 v6, v23, s5, v6
	v_lshrrev_b32_e32 v23, 16, v18
	v_add_f16_e32 v27, v39, v38
	v_add_f16_e32 v26, v23, v39
	v_fma_f16 v23, v27, -0.5, v23
	v_add_f16_e32 v18, v18, v22
	v_sub_f16_e32 v22, v22, v24
	v_add_f16_e32 v26, v26, v38
	v_add_f16_e32 v18, v18, v24
	v_fma_f16 v24, v22, s5, v23
	v_fma_f16 v22, v22, s4, v23
	v_mul_u32_u24_e32 v23, 0xf30, v31
	v_lshlrev_b32_e32 v27, 2, v32
	v_add3_u32 v23, 0, v23, v27
	v_pack_b32_f16 v18, v18, v26
	v_pack_b32_f16 v6, v6, v22
	ds_write_b32 v23, v18
	v_pack_b32_f16 v18, v25, v24
	ds_write_b32 v23, v6 offset:2592
	v_add_f16_e32 v6, v40, v41
	ds_write_b32 v23, v18 offset:1296
	v_fma_f16 v6, v6, -0.5, v19
	v_lshrrev_b32_e32 v18, 16, v19
	v_sub_f16_e32 v22, v20, v21
	v_add_f16_e32 v19, v19, v40
	v_fma_f16 v23, v22, s4, v6
	v_fma_f16 v6, v22, s5, v6
	v_add_f16_e32 v22, v18, v20
	v_add_f16_e32 v20, v20, v21
	;; [unrolled: 1-line block ×3, first 2 shown]
	v_fma_f16 v18, v20, -0.5, v18
	v_add_f16_e32 v19, v19, v41
	v_sub_f16_e32 v20, v40, v41
	v_fma_f16 v21, v20, s5, v18
	v_fma_f16 v18, v20, s4, v18
	v_pack_b32_f16 v19, v19, v22
	v_lshl_add_u32 v20, v33, 2, 0
	ds_write_b32 v20, v19 offset:7776
	v_pack_b32_f16 v19, v23, v21
	v_pack_b32_f16 v6, v6, v18
	ds_write_b32 v20, v19 offset:9072
	ds_write_b32 v20, v6 offset:10368
	s_waitcnt lgkmcnt(0)
	s_barrier
	global_load_dwordx2 v[16:17], v[16:17], off offset:3864
	v_lshlrev_b32_e32 v6, 1, v13
	v_lshlrev_b64 v[18:19], 2, v[6:7]
	v_lshlrev_b32_e32 v6, 1, v15
	v_add_co_u32_e32 v18, vcc, s12, v18
	v_addc_co_u32_e32 v19, vcc, v30, v19, vcc
	global_load_dwordx2 v[18:19], v[18:19], off offset:3864
	v_lshlrev_b64 v[20:21], 2, v[6:7]
	v_lshlrev_b32_e32 v6, 1, v14
	v_add_co_u32_e32 v20, vcc, s12, v20
	v_addc_co_u32_e32 v21, vcc, v30, v21, vcc
	global_load_dwordx2 v[20:21], v[20:21], off offset:3864
	v_lshlrev_b64 v[13:14], 2, v[6:7]
	ds_read2_b32 v[22:23], v11 offset0:12 offset1:255
	v_add_co_u32_e32 v13, vcc, s12, v13
	v_addc_co_u32_e32 v14, vcc, v30, v14, vcc
	global_load_dwordx2 v[13:14], v[13:14], off offset:3864
	ds_read2_b32 v[24:25], v10 offset0:8 offset1:251
	s_waitcnt lgkmcnt(1)
	v_lshrrev_b32_e32 v6, 16, v22
	s_waitcnt vmcnt(3)
	v_mul_f16_sdwa v15, v16, v22 dst_sel:DWORD dst_unused:UNUSED_PAD src0_sel:WORD_1 src1_sel:DWORD
	v_fma_f16 v26, v16, v6, v15
	v_mul_f16_sdwa v6, v16, v6 dst_sel:DWORD dst_unused:UNUSED_PAD src0_sel:WORD_1 src1_sel:DWORD
	v_fma_f16 v6, v16, v22, -v6
	s_waitcnt lgkmcnt(0)
	v_lshrrev_b32_e32 v15, 16, v24
	v_mul_f16_sdwa v16, v17, v24 dst_sel:DWORD dst_unused:UNUSED_PAD src0_sel:WORD_1 src1_sel:DWORD
	v_fma_f16 v22, v17, v15, v16
	v_mul_f16_sdwa v15, v17, v15 dst_sel:DWORD dst_unused:UNUSED_PAD src0_sel:WORD_1 src1_sel:DWORD
	v_fma_f16 v24, v17, v24, -v15
	v_lshrrev_b32_e32 v15, 16, v23
	s_waitcnt vmcnt(2)
	v_mul_f16_sdwa v16, v18, v15 dst_sel:DWORD dst_unused:UNUSED_PAD src0_sel:WORD_1 src1_sel:DWORD
	v_fma_f16 v27, v18, v23, -v16
	v_mul_f16_sdwa v16, v18, v23 dst_sel:DWORD dst_unused:UNUSED_PAD src0_sel:WORD_1 src1_sel:DWORD
	v_lshrrev_b32_e32 v17, 16, v25
	v_fma_f16 v23, v18, v15, v16
	ds_read2_b32 v[15:16], v9 offset0:2 offset1:245
	v_mul_f16_sdwa v18, v19, v17 dst_sel:DWORD dst_unused:UNUSED_PAD src0_sel:WORD_1 src1_sel:DWORD
	v_fma_f16 v28, v19, v25, -v18
	v_mul_f16_sdwa v18, v19, v25 dst_sel:DWORD dst_unused:UNUSED_PAD src0_sel:WORD_1 src1_sel:DWORD
	v_fma_f16 v19, v19, v17, v18
	ds_read2_b32 v[17:18], v8 offset0:6 offset1:249
	s_waitcnt lgkmcnt(1)
	v_lshrrev_b32_e32 v25, 16, v15
	s_waitcnt vmcnt(1)
	v_mul_f16_sdwa v29, v20, v15 dst_sel:DWORD dst_unused:UNUSED_PAD src0_sel:WORD_1 src1_sel:DWORD
	v_fma_f16 v29, v20, v25, v29
	v_mul_f16_sdwa v25, v20, v25 dst_sel:DWORD dst_unused:UNUSED_PAD src0_sel:WORD_1 src1_sel:DWORD
	v_fma_f16 v20, v20, v15, -v25
	s_waitcnt lgkmcnt(0)
	v_lshrrev_b32_e32 v15, 16, v17
	v_mul_f16_sdwa v25, v17, v21 dst_sel:DWORD dst_unused:UNUSED_PAD src0_sel:DWORD src1_sel:WORD_1
	v_fma_f16 v25, v15, v21, v25
	v_mul_f16_sdwa v15, v15, v21 dst_sel:DWORD dst_unused:UNUSED_PAD src0_sel:DWORD src1_sel:WORD_1
	v_fma_f16 v17, v17, v21, -v15
	v_lshrrev_b32_e32 v15, 16, v16
	s_waitcnt vmcnt(0)
	v_mul_f16_sdwa v21, v15, v13 dst_sel:DWORD dst_unused:UNUSED_PAD src0_sel:DWORD src1_sel:WORD_1
	v_fma_f16 v21, v16, v13, -v21
	v_mul_f16_sdwa v16, v16, v13 dst_sel:DWORD dst_unused:UNUSED_PAD src0_sel:DWORD src1_sel:WORD_1
	v_fma_f16 v30, v15, v13, v16
	ds_read2_b32 v[15:16], v0 offset1:243
	v_lshrrev_b32_e32 v13, 16, v18
	v_mul_f16_sdwa v31, v13, v14 dst_sel:DWORD dst_unused:UNUSED_PAD src0_sel:DWORD src1_sel:WORD_1
	v_fma_f16 v31, v18, v14, -v31
	v_mul_f16_sdwa v18, v18, v14 dst_sel:DWORD dst_unused:UNUSED_PAD src0_sel:DWORD src1_sel:WORD_1
	s_waitcnt lgkmcnt(0)
	v_lshrrev_b32_e32 v32, 16, v15
	v_fma_f16 v18, v13, v14, v18
	v_add_f16_e32 v13, v15, v6
	v_add_f16_e32 v14, v32, v26
	;; [unrolled: 1-line block ×4, first 2 shown]
	v_lshrrev_b32_e32 v34, 16, v16
	v_pack_b32_f16 v33, v13, v14
	v_add_f16_e32 v13, v16, v27
	v_add_f16_e32 v14, v34, v23
	;; [unrolled: 1-line block ×4, first 2 shown]
	v_pack_b32_f16 v35, v13, v14
	ds_read2_b32 v[13:14], v12 offset0:6 offset1:249
	s_waitcnt lgkmcnt(0)
	s_barrier
	ds_write2_b32 v0, v33, v35 offset1:243
	v_add_f16_e32 v0, v6, v24
	v_fma_f16 v0, v0, -0.5, v15
	v_add_f16_e32 v15, v27, v28
	v_fma_f16 v15, v15, -0.5, v16
	v_sub_f16_e32 v16, v26, v22
	v_add_f16_e32 v22, v26, v22
	v_fma_f16 v22, v22, -0.5, v32
	v_sub_f16_e32 v6, v6, v24
	v_sub_f16_e32 v24, v23, v19
	v_add_f16_e32 v19, v23, v19
	v_fma_f16 v19, v19, -0.5, v34
	v_sub_f16_e32 v23, v27, v28
	v_fma_f16 v26, v16, s4, v0
	v_fma_f16 v27, v6, s5, v22
	v_pack_b32_f16 v26, v26, v27
	v_fma_f16 v27, v24, s4, v15
	v_fma_f16 v28, v23, s5, v19
	v_pack_b32_f16 v27, v27, v28
	ds_write2_b32 v11, v26, v27 offset0:12 offset1:255
	v_fma_f16 v0, v16, s5, v0
	v_fma_f16 v6, v6, s4, v22
	;; [unrolled: 1-line block ×4, first 2 shown]
	v_pack_b32_f16 v0, v0, v6
	v_pack_b32_f16 v6, v11, v15
	ds_write2_b32 v10, v0, v6 offset0:8 offset1:251
	v_add_f16_e32 v0, v20, v17
	v_fma_f16 v0, v0, -0.5, v13
	v_sub_f16_e32 v6, v29, v25
	v_fma_f16 v10, v6, s4, v0
	v_fma_f16 v0, v6, s5, v0
	v_lshrrev_b32_e32 v6, 16, v13
	v_add_f16_e32 v15, v29, v25
	v_add_f16_e32 v11, v6, v29
	v_fma_f16 v6, v15, -0.5, v6
	v_sub_f16_e32 v15, v20, v17
	v_add_f16_e32 v13, v13, v20
	v_fma_f16 v16, v15, s5, v6
	v_fma_f16 v6, v15, s4, v6
	v_add_f16_e32 v15, v21, v31
	v_add_f16_e32 v13, v13, v17
	v_fma_f16 v15, v15, -0.5, v14
	v_lshrrev_b32_e32 v17, 16, v14
	v_sub_f16_e32 v19, v30, v18
	v_fma_f16 v20, v19, s4, v15
	v_fma_f16 v15, v19, s5, v15
	v_add_f16_e32 v19, v17, v30
	v_add_f16_e32 v14, v14, v21
	;; [unrolled: 1-line block ×5, first 2 shown]
	v_fma_f16 v17, v18, -0.5, v17
	v_add_f16_e32 v14, v14, v31
	v_sub_f16_e32 v18, v21, v31
	v_fma_f16 v21, v18, s5, v17
	v_pack_b32_f16 v11, v13, v11
	v_pack_b32_f16 v0, v0, v6
	;; [unrolled: 1-line block ×3, first 2 shown]
	v_fma_f16 v17, v18, s4, v17
	v_pack_b32_f16 v10, v10, v16
	ds_write2_b32 v12, v11, v6 offset0:6 offset1:249
	v_pack_b32_f16 v6, v20, v21
	ds_write2_b32 v9, v10, v6 offset0:2 offset1:245
	;; [unrolled: 2-line block ×3, first 2 shown]
	s_waitcnt lgkmcnt(0)
	s_barrier
	s_and_saveexec_b64 s[4:5], s[0:1]
	s_cbranch_execz .LBB0_21
; %bb.20:
	v_mul_lo_u32 v0, s3, v3
	v_mul_lo_u32 v6, s2, v4
	v_mad_u64_u32 v[3:4], s[0:1], s2, v3, 0
	v_lshl_add_u32 v10, v5, 2, 0
	ds_read2_b32 v[8:9], v10 offset1:243
	v_add3_u32 v4, v4, v6, v0
	v_lshlrev_b64 v[3:4], 2, v[3:4]
	v_mov_b32_e32 v0, s11
	v_add_co_u32_e32 v3, vcc, s10, v3
	v_addc_co_u32_e32 v4, vcc, v0, v4, vcc
	v_lshlrev_b64 v[0:1], 2, v[1:2]
	v_mov_b32_e32 v6, v7
	v_add_co_u32_e32 v11, vcc, v3, v0
	v_addc_co_u32_e32 v4, vcc, v4, v1, vcc
	v_lshlrev_b64 v[0:1], 2, v[5:6]
	v_add_u32_e32 v6, 0xf3, v5
	v_add_co_u32_e32 v0, vcc, v11, v0
	v_addc_co_u32_e32 v1, vcc, v4, v1, vcc
	s_waitcnt lgkmcnt(0)
	global_store_dword v[0:1], v8, off
	v_lshlrev_b64 v[0:1], 2, v[6:7]
	v_add_u32_e32 v6, 0x1e6, v5
	v_add_co_u32_e32 v0, vcc, v11, v0
	v_addc_co_u32_e32 v1, vcc, v4, v1, vcc
	global_store_dword v[0:1], v9, off
	v_add_u32_e32 v0, 0x780, v10
	ds_read2_b32 v[0:1], v0 offset0:6 offset1:249
	v_lshlrev_b64 v[2:3], 2, v[6:7]
	v_add_u32_e32 v6, 0x2d9, v5
	v_add_co_u32_e32 v2, vcc, v11, v2
	v_addc_co_u32_e32 v3, vcc, v4, v3, vcc
	s_waitcnt lgkmcnt(0)
	global_store_dword v[2:3], v0, off
	v_lshlrev_b64 v[2:3], 2, v[6:7]
	v_add_u32_e32 v0, 0xf00, v10
	v_add_co_u32_e32 v2, vcc, v11, v2
	v_addc_co_u32_e32 v3, vcc, v4, v3, vcc
	global_store_dword v[2:3], v1, off
	v_add_u32_e32 v6, 0x3cc, v5
	ds_read2_b32 v[0:1], v0 offset0:12 offset1:255
	;; [unrolled: 13-line block ×5, first 2 shown]
	v_lshlrev_b64 v[2:3], 2, v[6:7]
	v_add_u32_e32 v6, 0xa71, v5
	v_add_co_u32_e32 v2, vcc, v11, v2
	v_addc_co_u32_e32 v3, vcc, v4, v3, vcc
	s_waitcnt lgkmcnt(0)
	global_store_dword v[2:3], v0, off
	v_lshlrev_b64 v[2:3], 2, v[6:7]
	v_add_co_u32_e32 v2, vcc, v11, v2
	v_addc_co_u32_e32 v3, vcc, v4, v3, vcc
	global_store_dword v[2:3], v1, off
.LBB0_21:
	s_endpgm
	.section	.rodata,"a",@progbits
	.p2align	6, 0x0
	.amdhsa_kernel fft_rtc_fwd_len2916_factors_6_6_3_3_3_3_wgs_243_tpt_243_halfLds_half_op_CI_CI_unitstride_sbrr_C2R_dirReg
		.amdhsa_group_segment_fixed_size 0
		.amdhsa_private_segment_fixed_size 0
		.amdhsa_kernarg_size 104
		.amdhsa_user_sgpr_count 6
		.amdhsa_user_sgpr_private_segment_buffer 1
		.amdhsa_user_sgpr_dispatch_ptr 0
		.amdhsa_user_sgpr_queue_ptr 0
		.amdhsa_user_sgpr_kernarg_segment_ptr 1
		.amdhsa_user_sgpr_dispatch_id 0
		.amdhsa_user_sgpr_flat_scratch_init 0
		.amdhsa_user_sgpr_private_segment_size 0
		.amdhsa_uses_dynamic_stack 0
		.amdhsa_system_sgpr_private_segment_wavefront_offset 0
		.amdhsa_system_sgpr_workgroup_id_x 1
		.amdhsa_system_sgpr_workgroup_id_y 0
		.amdhsa_system_sgpr_workgroup_id_z 0
		.amdhsa_system_sgpr_workgroup_info 0
		.amdhsa_system_vgpr_workitem_id 0
		.amdhsa_next_free_vgpr 46
		.amdhsa_next_free_sgpr 28
		.amdhsa_reserve_vcc 1
		.amdhsa_reserve_flat_scratch 0
		.amdhsa_float_round_mode_32 0
		.amdhsa_float_round_mode_16_64 0
		.amdhsa_float_denorm_mode_32 3
		.amdhsa_float_denorm_mode_16_64 3
		.amdhsa_dx10_clamp 1
		.amdhsa_ieee_mode 1
		.amdhsa_fp16_overflow 0
		.amdhsa_exception_fp_ieee_invalid_op 0
		.amdhsa_exception_fp_denorm_src 0
		.amdhsa_exception_fp_ieee_div_zero 0
		.amdhsa_exception_fp_ieee_overflow 0
		.amdhsa_exception_fp_ieee_underflow 0
		.amdhsa_exception_fp_ieee_inexact 0
		.amdhsa_exception_int_div_zero 0
	.end_amdhsa_kernel
	.text
.Lfunc_end0:
	.size	fft_rtc_fwd_len2916_factors_6_6_3_3_3_3_wgs_243_tpt_243_halfLds_half_op_CI_CI_unitstride_sbrr_C2R_dirReg, .Lfunc_end0-fft_rtc_fwd_len2916_factors_6_6_3_3_3_3_wgs_243_tpt_243_halfLds_half_op_CI_CI_unitstride_sbrr_C2R_dirReg
                                        ; -- End function
	.section	.AMDGPU.csdata,"",@progbits
; Kernel info:
; codeLenInByte = 9764
; NumSgprs: 32
; NumVgprs: 46
; ScratchSize: 0
; MemoryBound: 0
; FloatMode: 240
; IeeeMode: 1
; LDSByteSize: 0 bytes/workgroup (compile time only)
; SGPRBlocks: 3
; VGPRBlocks: 11
; NumSGPRsForWavesPerEU: 32
; NumVGPRsForWavesPerEU: 46
; Occupancy: 5
; WaveLimiterHint : 1
; COMPUTE_PGM_RSRC2:SCRATCH_EN: 0
; COMPUTE_PGM_RSRC2:USER_SGPR: 6
; COMPUTE_PGM_RSRC2:TRAP_HANDLER: 0
; COMPUTE_PGM_RSRC2:TGID_X_EN: 1
; COMPUTE_PGM_RSRC2:TGID_Y_EN: 0
; COMPUTE_PGM_RSRC2:TGID_Z_EN: 0
; COMPUTE_PGM_RSRC2:TIDIG_COMP_CNT: 0
	.type	__hip_cuid_13f7b5e5450af93b,@object ; @__hip_cuid_13f7b5e5450af93b
	.section	.bss,"aw",@nobits
	.globl	__hip_cuid_13f7b5e5450af93b
__hip_cuid_13f7b5e5450af93b:
	.byte	0                               ; 0x0
	.size	__hip_cuid_13f7b5e5450af93b, 1

	.ident	"AMD clang version 19.0.0git (https://github.com/RadeonOpenCompute/llvm-project roc-6.4.0 25133 c7fe45cf4b819c5991fe208aaa96edf142730f1d)"
	.section	".note.GNU-stack","",@progbits
	.addrsig
	.addrsig_sym __hip_cuid_13f7b5e5450af93b
	.amdgpu_metadata
---
amdhsa.kernels:
  - .args:
      - .actual_access:  read_only
        .address_space:  global
        .offset:         0
        .size:           8
        .value_kind:     global_buffer
      - .offset:         8
        .size:           8
        .value_kind:     by_value
      - .actual_access:  read_only
        .address_space:  global
        .offset:         16
        .size:           8
        .value_kind:     global_buffer
      - .actual_access:  read_only
        .address_space:  global
        .offset:         24
        .size:           8
        .value_kind:     global_buffer
      - .actual_access:  read_only
        .address_space:  global
        .offset:         32
        .size:           8
        .value_kind:     global_buffer
      - .offset:         40
        .size:           8
        .value_kind:     by_value
      - .actual_access:  read_only
        .address_space:  global
        .offset:         48
        .size:           8
        .value_kind:     global_buffer
      - .actual_access:  read_only
        .address_space:  global
        .offset:         56
        .size:           8
        .value_kind:     global_buffer
      - .offset:         64
        .size:           4
        .value_kind:     by_value
      - .actual_access:  read_only
        .address_space:  global
        .offset:         72
        .size:           8
        .value_kind:     global_buffer
      - .actual_access:  read_only
        .address_space:  global
        .offset:         80
        .size:           8
        .value_kind:     global_buffer
      - .actual_access:  read_only
        .address_space:  global
        .offset:         88
        .size:           8
        .value_kind:     global_buffer
      - .actual_access:  write_only
        .address_space:  global
        .offset:         96
        .size:           8
        .value_kind:     global_buffer
    .group_segment_fixed_size: 0
    .kernarg_segment_align: 8
    .kernarg_segment_size: 104
    .language:       OpenCL C
    .language_version:
      - 2
      - 0
    .max_flat_workgroup_size: 243
    .name:           fft_rtc_fwd_len2916_factors_6_6_3_3_3_3_wgs_243_tpt_243_halfLds_half_op_CI_CI_unitstride_sbrr_C2R_dirReg
    .private_segment_fixed_size: 0
    .sgpr_count:     32
    .sgpr_spill_count: 0
    .symbol:         fft_rtc_fwd_len2916_factors_6_6_3_3_3_3_wgs_243_tpt_243_halfLds_half_op_CI_CI_unitstride_sbrr_C2R_dirReg.kd
    .uniform_work_group_size: 1
    .uses_dynamic_stack: false
    .vgpr_count:     46
    .vgpr_spill_count: 0
    .wavefront_size: 64
amdhsa.target:   amdgcn-amd-amdhsa--gfx906
amdhsa.version:
  - 1
  - 2
...

	.end_amdgpu_metadata
